;; amdgpu-corpus repo=ROCm/rocFFT kind=compiled arch=gfx1030 opt=O3
	.text
	.amdgcn_target "amdgcn-amd-amdhsa--gfx1030"
	.amdhsa_code_object_version 6
	.protected	bluestein_single_fwd_len1200_dim1_dp_op_CI_CI ; -- Begin function bluestein_single_fwd_len1200_dim1_dp_op_CI_CI
	.globl	bluestein_single_fwd_len1200_dim1_dp_op_CI_CI
	.p2align	8
	.type	bluestein_single_fwd_len1200_dim1_dp_op_CI_CI,@function
bluestein_single_fwd_len1200_dim1_dp_op_CI_CI: ; @bluestein_single_fwd_len1200_dim1_dp_op_CI_CI
; %bb.0:
	s_load_dwordx4 s[8:11], s[4:5], 0x28
	v_mul_u32_u24_e32 v1, 0x36a, v0
	s_mov_b64 s[22:23], s[2:3]
	s_mov_b64 s[20:21], s[0:1]
	s_mov_b32 s0, exec_lo
	s_add_u32 s20, s20, s7
	v_lshrrev_b32_e32 v1, 16, v1
	s_addc_u32 s21, s21, 0
	v_mad_u64_u32 v[73:74], null, s6, 3, v[1:2]
	v_mov_b32_e32 v74, 0
	s_waitcnt lgkmcnt(0)
	v_cmpx_gt_u64_e64 s[8:9], v[73:74]
	s_cbranch_execz .LBB0_31
; %bb.1:
	s_clause 0x1
	s_load_dwordx4 s[0:3], s[4:5], 0x18
	s_load_dwordx2 s[6:7], s[4:5], 0x0
	v_mul_lo_u16 v1, 0x4b, v1
	v_mul_hi_u32 v64, 0xaaaaaaab, v73
	v_mov_b32_e32 v74, v73
	v_sub_nc_u16 v2, v0, v1
	v_lshrrev_b32_e32 v68, 1, v64
	v_and_b32_e32 v14, 0xffff, v2
	v_lshl_add_u32 v72, v68, 1, v68
	v_lshlrev_b32_e32 v3, 4, v14
	s_waitcnt lgkmcnt(0)
	s_load_dwordx4 s[12:15], s[0:1], 0x0
	s_clause 0x1
	global_load_dwordx4 v[84:87], v3, s[6:7]
	global_load_dwordx4 v[108:111], v3, s[6:7] offset:1200
	v_add_co_u32 v113, s0, s6, v3
	v_add_co_ci_u32_e64 v112, null, s7, 0, s0
	v_sub_nc_u32_e32 v80, v73, v72
	v_add_co_u32 v48, vcc_lo, 0x800, v113
	v_add_co_ci_u32_e32 v49, vcc_lo, 0, v112, vcc_lo
	v_add_co_u32 v54, vcc_lo, 0x1800, v113
	v_add_co_ci_u32_e32 v55, vcc_lo, 0, v112, vcc_lo
	;; [unrolled: 2-line block ×3, first 2 shown]
	s_clause 0x1
	global_load_dwordx4 v[96:99], v[48:49], off offset:1792
	global_load_dwordx4 v[92:95], v[54:55], off offset:1536
	buffer_store_dword v12, off, s[20:23], 0 offset:16 ; 4-byte Folded Spill
	buffer_store_dword v13, off, s[20:23], 0 offset:20 ; 4-byte Folded Spill
	v_add_co_u32 v10, vcc_lo, 0x3800, v113
	v_add_co_ci_u32_e32 v11, vcc_lo, 0, v112, vcc_lo
	s_waitcnt lgkmcnt(0)
	v_mad_u64_u32 v[4:5], null, s14, v73, 0
	v_mad_u64_u32 v[6:7], null, s12, v14, 0
	v_add_co_u32 v0, vcc_lo, 0x1000, v113
	v_add_co_ci_u32_e32 v1, vcc_lo, 0, v112, vcc_lo
	v_add_co_u32 v56, vcc_lo, 0x2000, v113
	v_mad_u64_u32 v[8:9], null, s15, v73, v[5:6]
	v_add_co_ci_u32_e32 v57, vcc_lo, 0, v112, vcc_lo
	v_add_co_u32 v60, vcc_lo, 0x3000, v113
	v_add_co_ci_u32_e32 v61, vcc_lo, 0, v112, vcc_lo
	v_mov_b32_e32 v5, v8
	s_mul_i32 s1, s13, 0xf0
	s_mul_hi_u32 s7, s12, 0xf0
	s_mul_i32 s0, s12, 0xf0
	s_mul_hi_u32 s9, s12, 0xfffffc8b
	s_add_i32 s1, s7, s1
	s_mul_i32 s8, s13, 0xfffffc8b
	s_mul_i32 s6, s12, 0xfffffc8b
	s_sub_i32 s7, s9, s12
	v_mul_u32_u24_e32 v80, 0x4b0, v80
	s_add_i32 s7, s7, s8
	v_lshlrev_b32_e32 v155, 4, v80
	global_load_dwordx4 v[88:91], v[12:13], off offset:1280
	buffer_store_dword v10, off, s[20:23], 0 offset:8 ; 4-byte Folded Spill
	buffer_store_dword v11, off, s[20:23], 0 offset:12 ; 4-byte Folded Spill
	s_clause 0x1
	global_load_dwordx4 v[126:129], v[10:11], off offset:1024
	global_load_dwordx4 v[122:125], v[0:1], off offset:944
	v_mad_u64_u32 v[0:1], null, s13, v14, v[7:8]
	s_lshl_b64 s[12:13], s[0:1], 4
	buffer_store_dword v14, off, s[20:23], 0 ; 4-byte Folded Spill
	s_clause 0x1
	global_load_dwordx4 v[118:121], v[56:57], off offset:688
	global_load_dwordx4 v[114:117], v[60:61], off offset:432
	s_lshl_b64 s[0:1], s[6:7], 4
	s_load_dwordx2 s[6:7], s[4:5], 0x38
	v_mov_b32_e32 v7, v0
	v_lshlrev_b64 v[0:1], 4, v[4:5]
	v_lshlrev_b64 v[4:5], 4, v[6:7]
	v_add_co_u32 v0, vcc_lo, s10, v0
	v_add_co_ci_u32_e32 v1, vcc_lo, s11, v1, vcc_lo
	v_add_co_u32 v0, vcc_lo, v0, v4
	v_add_co_ci_u32_e32 v1, vcc_lo, v1, v5, vcc_lo
	;; [unrolled: 2-line block ×4, first 2 shown]
	s_clause 0x1
	global_load_dwordx4 v[4:7], v[0:1], off
	global_load_dwordx4 v[8:11], v[8:9], off
	v_add_co_u32 v16, vcc_lo, v12, s12
	v_add_co_ci_u32_e32 v17, vcc_lo, s13, v13, vcc_lo
	v_add_co_u32 v0, vcc_lo, v16, s12
	v_add_co_ci_u32_e32 v1, vcc_lo, s13, v17, vcc_lo
	s_clause 0x1
	global_load_dwordx4 v[12:15], v[12:13], off
	global_load_dwordx4 v[16:19], v[16:17], off
	v_add_co_u32 v24, vcc_lo, v0, s0
	v_add_co_ci_u32_e32 v25, vcc_lo, s1, v1, vcc_lo
	global_load_dwordx4 v[20:23], v[0:1], off
	v_add_co_u32 v0, vcc_lo, v24, s12
	v_add_co_ci_u32_e32 v1, vcc_lo, s13, v25, vcc_lo
	;; [unrolled: 3-line block ×6, first 2 shown]
	v_add_co_u32 v62, vcc_lo, 0x4000, v113
	v_add_co_ci_u32_e32 v63, vcc_lo, 0, v112, vcc_lo
	global_load_dwordx4 v[40:43], v[40:41], off
	global_load_dwordx4 v[134:137], v[62:63], off offset:176
	global_load_dwordx4 v[44:47], v[0:1], off
	buffer_store_dword v48, off, s[20:23], 0 offset:40 ; 4-byte Folded Spill
	buffer_store_dword v49, off, s[20:23], 0 offset:44 ; 4-byte Folded Spill
	v_add_co_u32 v52, vcc_lo, v0, s12
	v_add_co_ci_u32_e32 v53, vcc_lo, s13, v1, vcc_lo
	global_load_dwordx4 v[130:133], v[48:49], off offset:352
	global_load_dwordx4 v[48:51], v[52:53], off
	buffer_store_dword v54, off, s[20:23], 0 offset:24 ; 4-byte Folded Spill
	buffer_store_dword v55, off, s[20:23], 0 offset:28 ; 4-byte Folded Spill
	s_waitcnt vmcnt(13)
	v_mul_f64 v[64:65], v[6:7], v[86:87]
	s_waitcnt vmcnt(12)
	v_mul_f64 v[68:69], v[10:11], v[98:99]
	;; [unrolled: 2-line block ×4, first 2 shown]
	v_add_co_u32 v0, vcc_lo, v52, s12
	v_add_co_ci_u32_e32 v1, vcc_lo, s13, v53, vcc_lo
	v_mul_f64 v[66:67], v[4:5], v[86:87]
	v_add_co_u32 v58, vcc_lo, v0, s12
	v_add_co_ci_u32_e32 v59, vcc_lo, s13, v1, vcc_lo
	v_mul_f64 v[70:71], v[8:9], v[98:99]
	v_mul_f64 v[78:79], v[16:17], v[90:91]
	s_waitcnt vmcnt(9)
	v_mul_f64 v[80:81], v[22:23], v[128:129]
	v_mul_f64 v[82:83], v[20:21], v[128:129]
	v_fma_f64 v[4:5], v[4:5], v[84:85], v[64:65]
	v_fma_f64 v[8:9], v[8:9], v[96:97], v[68:69]
	s_waitcnt vmcnt(8)
	v_mul_f64 v[64:65], v[26:27], v[110:111]
	v_fma_f64 v[16:17], v[16:17], v[88:89], v[76:77]
	s_waitcnt vmcnt(7)
	v_mul_f64 v[68:69], v[30:31], v[124:125]
	s_waitcnt vmcnt(5)
	v_mul_f64 v[76:77], v[38:39], v[116:117]
	v_fma_f64 v[20:21], v[20:21], v[126:127], v[80:81]
	v_add_nc_u32_e32 v80, v3, v155
	global_load_dwordx4 v[138:141], v[54:55], off offset:96
	global_load_dwordx4 v[52:55], v[0:1], off
	v_add_co_u32 v0, vcc_lo, v58, s12
	v_add_co_ci_u32_e32 v1, vcc_lo, s13, v59, vcc_lo
	global_load_dwordx4 v[142:145], v[56:57], off offset:1888
	global_load_dwordx4 v[56:59], v[58:59], off
	s_clause 0x1
	global_load_dwordx4 v[146:149], v[60:61], off offset:1632
	global_load_dwordx4 v[150:153], v[62:63], off offset:1376
	global_load_dwordx4 v[60:63], v[0:1], off
	buffer_store_dword v74, off, s[20:23], 0 offset:32 ; 4-byte Folded Spill
	buffer_store_dword v75, off, s[20:23], 0 offset:36 ; 4-byte Folded Spill
	v_mul_f64 v[74:75], v[12:13], v[94:95]
	buffer_store_dword v84, off, s[20:23], 0 offset:48 ; 4-byte Folded Spill
	buffer_store_dword v85, off, s[20:23], 0 offset:52 ; 4-byte Folded Spill
	;; [unrolled: 1-line block ×8, first 2 shown]
	v_fma_f64 v[12:13], v[12:13], v[92:93], v[72:73]
	buffer_store_dword v92, off, s[20:23], 0 offset:176 ; 4-byte Folded Spill
	buffer_store_dword v93, off, s[20:23], 0 offset:180 ; 4-byte Folded Spill
	;; [unrolled: 1-line block ×8, first 2 shown]
	v_mul_f64 v[72:73], v[34:35], v[120:121]
	s_waitcnt vmcnt(10)
	v_mul_f64 v[86:87], v[40:41], v[136:137]
	s_waitcnt vmcnt(8)
	v_mul_f64 v[90:91], v[44:45], v[132:133]
	buffer_store_dword v126, off, s[20:23], 0 offset:128 ; 4-byte Folded Spill
	buffer_store_dword v127, off, s[20:23], 0 offset:132 ; 4-byte Folded Spill
	;; [unrolled: 1-line block ×4, first 2 shown]
	v_cmp_gt_u16_e32 vcc_lo, 15, v2
	s_waitcnt vmcnt(6)
	v_mul_f64 v[94:95], v[48:49], v[140:141]
	s_waitcnt vmcnt(4)
	v_mul_f64 v[98:99], v[52:53], v[144:145]
	;; [unrolled: 2-line block ×3, first 2 shown]
	v_mul_f64 v[102:103], v[56:57], v[148:149]
	v_fma_f64 v[6:7], v[6:7], v[84:85], -v[66:67]
	v_mul_f64 v[84:85], v[42:43], v[136:137]
	v_fma_f64 v[10:11], v[10:11], v[96:97], -v[70:71]
	v_fma_f64 v[14:15], v[14:15], v[92:93], -v[74:75]
	v_fma_f64 v[18:19], v[18:19], v[88:89], -v[78:79]
	v_mul_f64 v[88:89], v[46:47], v[132:133]
	v_mul_f64 v[92:93], v[50:51], v[140:141]
	;; [unrolled: 1-line block ×3, first 2 shown]
	s_waitcnt vmcnt(0)
	v_mul_f64 v[104:105], v[62:63], v[152:153]
	v_mul_f64 v[66:67], v[24:25], v[110:111]
	;; [unrolled: 1-line block ×5, first 2 shown]
	v_fma_f64 v[24:25], v[24:25], v[108:109], v[64:65]
	buffer_store_dword v108, off, s[20:23], 0 offset:64 ; 4-byte Folded Spill
	buffer_store_dword v109, off, s[20:23], 0 offset:68 ; 4-byte Folded Spill
	buffer_store_dword v110, off, s[20:23], 0 offset:72 ; 4-byte Folded Spill
	buffer_store_dword v111, off, s[20:23], 0 offset:76 ; 4-byte Folded Spill
	v_fma_f64 v[28:29], v[28:29], v[122:123], v[68:69]
	buffer_store_dword v122, off, s[20:23], 0 offset:112 ; 4-byte Folded Spill
	buffer_store_dword v123, off, s[20:23], 0 offset:116 ; 4-byte Folded Spill
	buffer_store_dword v124, off, s[20:23], 0 offset:120 ; 4-byte Folded Spill
	buffer_store_dword v125, off, s[20:23], 0 offset:124 ; 4-byte Folded Spill
	;; [unrolled: 5-line block ×4, first 2 shown]
	v_fma_f64 v[56:57], v[56:57], v[146:147], v[100:101]
	v_mul_f64 v[106:107], v[60:61], v[152:153]
	v_fma_f64 v[40:41], v[40:41], v[134:135], v[84:85]
	buffer_store_dword v134, off, s[20:23], 0 offset:192 ; 4-byte Folded Spill
	buffer_store_dword v135, off, s[20:23], 0 offset:196 ; 4-byte Folded Spill
	;; [unrolled: 1-line block ×4, first 2 shown]
	v_fma_f64 v[22:23], v[22:23], v[126:127], -v[82:83]
	v_fma_f64 v[44:45], v[44:45], v[130:131], v[88:89]
	buffer_store_dword v130, off, s[20:23], 0 offset:160 ; 4-byte Folded Spill
	buffer_store_dword v131, off, s[20:23], 0 offset:164 ; 4-byte Folded Spill
	buffer_store_dword v132, off, s[20:23], 0 offset:168 ; 4-byte Folded Spill
	buffer_store_dword v133, off, s[20:23], 0 offset:172 ; 4-byte Folded Spill
	v_fma_f64 v[48:49], v[48:49], v[138:139], v[92:93]
	buffer_store_dword v138, off, s[20:23], 0 offset:224 ; 4-byte Folded Spill
	buffer_store_dword v139, off, s[20:23], 0 offset:228 ; 4-byte Folded Spill
	buffer_store_dword v140, off, s[20:23], 0 offset:232 ; 4-byte Folded Spill
	buffer_store_dword v141, off, s[20:23], 0 offset:236 ; 4-byte Folded Spill
	;; [unrolled: 5-line block ×3, first 2 shown]
	buffer_store_dword v146, off, s[20:23], 0 offset:256 ; 4-byte Folded Spill
	buffer_store_dword v147, off, s[20:23], 0 offset:260 ; 4-byte Folded Spill
	;; [unrolled: 1-line block ×4, first 2 shown]
	v_fma_f64 v[60:61], v[60:61], v[150:151], v[104:105]
	buffer_store_dword v150, off, s[20:23], 0 offset:272 ; 4-byte Folded Spill
	buffer_store_dword v151, off, s[20:23], 0 offset:276 ; 4-byte Folded Spill
	;; [unrolled: 1-line block ×4, first 2 shown]
	s_load_dwordx4 s[8:11], s[2:3], 0x0
	v_fma_f64 v[26:27], v[26:27], v[108:109], -v[66:67]
	v_fma_f64 v[30:31], v[30:31], v[122:123], -v[70:71]
	;; [unrolled: 1-line block ×6, first 2 shown]
	ds_write_b128 v80, v[4:7]
	ds_write_b128 v80, v[8:11] offset:3840
	ds_write_b128 v80, v[12:15] offset:7680
	;; [unrolled: 1-line block ×10, first 2 shown]
	v_fma_f64 v[50:51], v[50:51], v[138:139], -v[94:95]
	v_fma_f64 v[54:55], v[54:55], v[142:143], -v[98:99]
	;; [unrolled: 1-line block ×4, first 2 shown]
	ds_write_b128 v80, v[48:51] offset:6240
	ds_write_b128 v80, v[52:55] offset:10080
	;; [unrolled: 1-line block ×4, first 2 shown]
	s_and_saveexec_b32 s2, vcc_lo
	s_cbranch_execz .LBB0_3
; %bb.2:
	v_add_co_u32 v0, s0, v0, s0
	v_add_co_ci_u32_e64 v1, s0, s1, v1, s0
	v_add_co_u32 v8, s0, v0, s12
	v_add_co_ci_u32_e64 v9, s0, s13, v1, s0
	global_load_dwordx4 v[0:3], v[0:1], off
	s_clause 0x1
	buffer_load_dword v4, off, s[20:23], 0 offset:40
	buffer_load_dword v5, off, s[20:23], 0 offset:44
	v_add_co_u32 v20, s0, v8, s12
	v_add_co_ci_u32_e64 v21, s0, s13, v9, s0
	s_waitcnt vmcnt(0)
	global_load_dwordx4 v[4:7], v[4:5], off offset:1552
	global_load_dwordx4 v[8:11], v[8:9], off
	s_clause 0x1
	buffer_load_dword v12, off, s[20:23], 0 offset:24
	buffer_load_dword v13, off, s[20:23], 0 offset:28
	v_add_co_u32 v24, s0, v20, s12
	v_add_co_ci_u32_e64 v25, s0, s13, v21, s0
	v_add_co_u32 v32, s0, 0x4800, v113
	v_add_co_ci_u32_e64 v33, s0, 0, v112, s0
	;; [unrolled: 2-line block ×3, first 2 shown]
	s_waitcnt vmcnt(0)
	global_load_dwordx4 v[12:15], v[12:13], off offset:1296
	global_load_dwordx4 v[16:19], v[20:21], off
	s_clause 0x1
	buffer_load_dword v20, off, s[20:23], 0 offset:16
	buffer_load_dword v21, off, s[20:23], 0 offset:20
	v_mul_f64 v[40:41], v[2:3], v[6:7]
	v_mul_f64 v[6:7], v[0:1], v[6:7]
	s_waitcnt vmcnt(0)
	global_load_dwordx4 v[20:23], v[20:21], off offset:1040
	global_load_dwordx4 v[24:27], v[24:25], off
	s_clause 0x1
	buffer_load_dword v28, off, s[20:23], 0 offset:8
	buffer_load_dword v29, off, s[20:23], 0 offset:12
	v_mul_f64 v[42:43], v[10:11], v[14:15]
	v_mul_f64 v[14:15], v[8:9], v[14:15]
	v_fma_f64 v[0:1], v[0:1], v[4:5], v[40:41]
	v_fma_f64 v[2:3], v[2:3], v[4:5], -v[6:7]
	s_waitcnt vmcnt(0)
	s_clause 0x1
	global_load_dwordx4 v[28:31], v[28:29], off offset:784
	global_load_dwordx4 v[32:35], v[32:33], off offset:528
	global_load_dwordx4 v[36:39], v[36:37], off
	v_mul_f64 v[44:45], v[18:19], v[22:23]
	v_mul_f64 v[22:23], v[16:17], v[22:23]
	v_fma_f64 v[4:5], v[8:9], v[12:13], v[42:43]
	v_fma_f64 v[6:7], v[10:11], v[12:13], -v[14:15]
	v_fma_f64 v[8:9], v[16:17], v[20:21], v[44:45]
	v_fma_f64 v[10:11], v[18:19], v[20:21], -v[22:23]
	s_waitcnt vmcnt(2)
	v_mul_f64 v[46:47], v[26:27], v[30:31]
	v_mul_f64 v[30:31], v[24:25], v[30:31]
	s_waitcnt vmcnt(0)
	v_mul_f64 v[48:49], v[38:39], v[34:35]
	v_mul_f64 v[34:35], v[36:37], v[34:35]
	v_fma_f64 v[12:13], v[24:25], v[28:29], v[46:47]
	v_fma_f64 v[14:15], v[26:27], v[28:29], -v[30:31]
	v_fma_f64 v[16:17], v[36:37], v[32:33], v[48:49]
	v_fma_f64 v[18:19], v[38:39], v[32:33], -v[34:35]
	ds_write_b128 v80, v[0:3] offset:3600
	ds_write_b128 v80, v[4:7] offset:7440
	;; [unrolled: 1-line block ×5, first 2 shown]
.LBB0_3:
	s_or_b32 exec_lo, exec_lo, s2
	s_waitcnt lgkmcnt(0)
	s_waitcnt_vscnt null, 0x0
	s_barrier
	buffer_gl0_inv
	ds_read_b128 v[72:75], v80
	ds_read_b128 v[60:63], v80 offset:1200
	ds_read_b128 v[68:71], v80 offset:7680
	;; [unrolled: 1-line block ×14, first 2 shown]
                                        ; implicit-def: $vgpr28_vgpr29
                                        ; implicit-def: $vgpr16_vgpr17
                                        ; implicit-def: $vgpr32_vgpr33
                                        ; implicit-def: $vgpr24_vgpr25
                                        ; implicit-def: $vgpr8_vgpr9
	s_and_saveexec_b32 s0, vcc_lo
	s_cbranch_execz .LBB0_5
; %bb.4:
	ds_read_b128 v[28:31], v80 offset:3600
	ds_read_b128 v[16:19], v80 offset:7440
	ds_read_b128 v[32:35], v80 offset:11280
	ds_read_b128 v[24:27], v80 offset:15120
	ds_read_b128 v[8:11], v80 offset:18960
.LBB0_5:
	s_or_b32 exec_lo, exec_lo, s0
	buffer_load_dword v111, off, s[20:23], 0 ; 4-byte Folded Reload
	s_waitcnt lgkmcnt(4)
	v_add_f64 v[83:84], v[68:69], v[64:65]
	v_add_f64 v[85:86], v[76:77], v[44:45]
	;; [unrolled: 1-line block ×3, first 2 shown]
	v_add_f64 v[89:90], v[78:79], -v[46:47]
	v_add_f64 v[91:92], v[70:71], -v[66:67]
	v_add_f64 v[93:94], v[70:71], v[66:67]
	v_add_f64 v[97:98], v[78:79], v[46:47]
	s_waitcnt lgkmcnt(2)
	v_add_f64 v[101:102], v[52:53], v[48:49]
	s_mov_b32 s12, 0x134454ff
	s_mov_b32 s13, 0x3fee6f0e
	;; [unrolled: 1-line block ×4, first 2 shown]
	v_add_f64 v[95:96], v[44:45], -v[64:65]
	v_add_f64 v[99:100], v[68:69], -v[76:77]
	;; [unrolled: 1-line block ×3, first 2 shown]
	v_add_f64 v[105:106], v[74:75], v[78:79]
	v_add_f64 v[107:108], v[68:69], -v[64:65]
	v_add_f64 v[116:117], v[56:57], v[40:41]
	v_add_f64 v[124:125], v[58:59], -v[42:43]
	v_add_f64 v[130:131], v[54:55], v[50:51]
	v_add_f64 v[132:133], v[58:59], v[42:43]
	s_load_dwordx2 s[2:3], s[4:5], 0x8
	v_fma_f64 v[83:84], v[83:84], -0.5, v[72:73]
	v_fma_f64 v[72:73], v[85:86], -0.5, v[72:73]
	v_add_f64 v[85:86], v[76:77], -v[68:69]
	v_add_f64 v[76:77], v[76:77], -v[44:45]
	v_add_f64 v[68:69], v[87:88], v[68:69]
	v_fma_f64 v[87:88], v[93:94], -0.5, v[74:75]
	v_fma_f64 v[74:75], v[97:98], -0.5, v[74:75]
	v_add_f64 v[97:98], v[60:61], v[56:57]
	v_fma_f64 v[101:102], v[101:102], -0.5, v[60:61]
	s_mov_b32 s4, 0x4755a5e
	s_mov_b32 s5, 0x3fe2cf23
	s_mov_b32 s15, 0xbfe2cf23
	s_mov_b32 s14, s4
	v_add_f64 v[109:110], v[78:79], -v[70:71]
	v_add_f64 v[120:121], v[46:47], -v[66:67]
	;; [unrolled: 1-line block ×6, first 2 shown]
	v_add_f64 v[70:71], v[105:106], v[70:71]
	v_fma_f64 v[60:61], v[116:117], -0.5, v[60:61]
	v_add_f64 v[105:106], v[48:49], -v[40:41]
	v_fma_f64 v[93:94], v[89:90], s[12:13], v[83:84]
	v_fma_f64 v[83:84], v[89:90], s[16:17], v[83:84]
	;; [unrolled: 1-line block ×4, first 2 shown]
	v_add_f64 v[85:86], v[85:86], v[95:96]
	v_add_f64 v[95:96], v[99:100], v[103:104]
	v_add_f64 v[64:65], v[68:69], v[64:65]
	v_fma_f64 v[68:69], v[76:77], s[16:17], v[87:88]
	v_fma_f64 v[87:88], v[76:77], s[12:13], v[87:88]
	v_add_f64 v[99:100], v[52:53], -v[56:57]
	v_fma_f64 v[103:104], v[107:108], s[12:13], v[74:75]
	v_fma_f64 v[74:75], v[107:108], s[16:17], v[74:75]
	v_add_f64 v[97:98], v[97:98], v[52:53]
	v_add_f64 v[116:117], v[62:63], v[58:59]
	v_add_f64 v[134:135], v[56:57], -v[40:41]
	v_add_f64 v[136:137], v[52:53], -v[48:49]
	v_fma_f64 v[130:131], v[130:131], -0.5, v[62:63]
	v_fma_f64 v[62:63], v[132:133], -0.5, v[62:63]
	v_add_f64 v[78:79], v[78:79], v[122:123]
	v_add_f64 v[66:67], v[70:71], v[66:67]
	v_fma_f64 v[70:71], v[126:127], s[16:17], v[60:61]
	v_fma_f64 v[60:61], v[126:127], s[12:13], v[60:61]
	;; [unrolled: 1-line block ×6, first 2 shown]
	v_add_f64 v[89:90], v[40:41], -v[48:49]
	v_fma_f64 v[118:119], v[124:125], s[12:13], v[101:102]
	v_fma_f64 v[101:102], v[124:125], s[16:17], v[101:102]
	v_add_f64 v[44:45], v[64:65], v[44:45]
	v_fma_f64 v[132:133], v[107:108], s[14:15], v[68:69]
	v_add_f64 v[99:100], v[99:100], v[105:106]
	v_add_f64 v[140:141], v[18:19], -v[34:35]
	v_fma_f64 v[74:75], v[76:77], s[4:5], v[74:75]
	v_add_f64 v[48:49], v[97:98], v[48:49]
	s_waitcnt lgkmcnt(0)
	v_add_f64 v[142:143], v[10:11], -v[26:27]
	s_waitcnt vmcnt(0)
	s_barrier
	v_fma_f64 v[97:98], v[134:135], s[16:17], v[130:131]
	v_fma_f64 v[105:106], v[136:137], s[12:13], v[62:63]
	;; [unrolled: 1-line block ×3, first 2 shown]
	v_add_f64 v[46:47], v[66:67], v[46:47]
	buffer_gl0_inv
	v_fma_f64 v[60:61], v[124:125], s[14:15], v[60:61]
	v_add_f64 v[89:90], v[128:129], v[89:90]
	v_add_f64 v[40:41], v[48:49], v[40:41]
	v_fma_f64 v[62:63], v[134:135], s[4:5], v[62:63]
	v_add_co_u32 v115, s0, 0x4b, v111
	v_add_co_ci_u32_e64 v81, null, 0, 0, s0
	v_add_co_u32 v114, s0, 0x96, v111
	v_add_co_ci_u32_e64 v81, null, 0, 0, s0
	s_mov_b32 s0, 0x372fe950
	s_mov_b32 s1, 0x3fd3c6ef
	v_add_co_u32 v82, null, 0xe1, v111
	v_fma_f64 v[52:53], v[85:86], s[0:1], v[93:94]
	v_fma_f64 v[56:57], v[85:86], s[0:1], v[83:84]
	;; [unrolled: 1-line block ×4, first 2 shown]
	v_add_f64 v[72:73], v[109:110], v[120:121]
	v_fma_f64 v[83:84], v[107:108], s[4:5], v[87:88]
	v_add_f64 v[85:86], v[20:21], v[4:5]
	v_fma_f64 v[87:88], v[76:77], s[14:15], v[103:104]
	v_fma_f64 v[76:77], v[126:127], s[4:5], v[118:119]
	v_add_f64 v[91:92], v[116:117], v[54:55]
	v_add_f64 v[93:94], v[12:13], v[0:1]
	v_fma_f64 v[95:96], v[126:127], s[14:15], v[101:102]
	v_add_f64 v[101:102], v[58:59], -v[54:55]
	v_add_f64 v[103:104], v[42:43], -v[50:51]
	v_fma_f64 v[107:108], v[134:135], s[12:13], v[130:131]
	v_add_f64 v[116:117], v[54:55], -v[58:59]
	v_add_f64 v[118:119], v[50:51], -v[42:43]
	v_add_f64 v[120:121], v[36:37], v[12:13]
	v_fma_f64 v[109:110], v[124:125], s[4:5], v[70:71]
	v_add_f64 v[126:127], v[14:15], -v[2:3]
	v_fma_f64 v[70:71], v[78:79], s[0:1], v[74:75]
	v_fma_f64 v[74:75], v[136:137], s[14:15], v[97:98]
	v_add_f64 v[124:125], v[38:39], v[14:15]
	v_fma_f64 v[54:55], v[72:73], s[0:1], v[132:133]
	v_fma_f64 v[58:59], v[72:73], s[0:1], v[83:84]
	v_fma_f64 v[122:123], v[85:86], -0.5, v[36:37]
	v_fma_f64 v[66:67], v[78:79], s[0:1], v[87:88]
	v_fma_f64 v[48:49], v[89:90], s[0:1], v[76:77]
	v_add_f64 v[50:51], v[91:92], v[50:51]
	v_add_f64 v[91:92], v[22:23], -v[6:7]
	v_fma_f64 v[36:37], v[93:94], -0.5, v[36:37]
	v_fma_f64 v[72:73], v[89:90], s[0:1], v[95:96]
	v_add_f64 v[78:79], v[101:102], v[103:104]
	v_fma_f64 v[86:87], v[136:137], s[4:5], v[107:108]
	v_fma_f64 v[93:94], v[134:135], s[14:15], v[105:106]
	v_add_f64 v[95:96], v[116:117], v[118:119]
	v_add_f64 v[88:89], v[22:23], v[6:7]
	;; [unrolled: 1-line block ×4, first 2 shown]
	v_fma_f64 v[76:77], v[99:100], s[0:1], v[109:110]
	v_add_f64 v[105:106], v[12:13], -v[20:21]
	v_add_f64 v[107:108], v[0:1], -v[4:5]
	v_fma_f64 v[84:85], v[99:100], s[0:1], v[60:61]
	v_add_f64 v[60:61], v[32:33], v[24:25]
	v_add_f64 v[116:117], v[20:21], -v[12:13]
	v_add_f64 v[118:119], v[16:17], v[8:9]
	v_add_f64 v[120:121], v[4:5], -v[0:1]
	v_fma_f64 v[101:102], v[126:127], s[12:13], v[122:123]
	v_fma_f64 v[99:100], v[126:127], s[16:17], v[122:123]
	v_add_f64 v[122:123], v[34:35], v[26:27]
	v_add_f64 v[42:43], v[50:51], v[42:43]
	v_add_f64 v[12:13], v[12:13], -v[0:1]
	v_fma_f64 v[109:110], v[91:92], s[16:17], v[36:37]
	v_fma_f64 v[36:37], v[91:92], s[12:13], v[36:37]
	;; [unrolled: 1-line block ×4, first 2 shown]
	v_add_f64 v[132:133], v[16:17], -v[32:33]
	v_fma_f64 v[78:79], v[95:96], s[0:1], v[93:94]
	v_add_f64 v[93:94], v[18:19], v[10:11]
	v_fma_f64 v[88:89], v[88:89], -0.5, v[38:39]
	v_fma_f64 v[86:87], v[95:96], s[0:1], v[62:63]
	v_add_f64 v[62:63], v[97:98], v[4:5]
	v_add_f64 v[4:5], v[20:21], -v[4:5]
	v_fma_f64 v[20:21], v[103:104], -0.5, v[38:39]
	v_add_f64 v[97:98], v[28:29], v[16:17]
	v_add_f64 v[95:96], v[105:106], v[107:108]
	v_fma_f64 v[60:61], v[60:61], -0.5, v[28:29]
	v_add_f64 v[105:106], v[34:35], -v[26:27]
	v_fma_f64 v[28:29], v[118:119], -0.5, v[28:29]
	v_fma_f64 v[38:39], v[91:92], s[4:5], v[101:102]
	v_add_f64 v[101:102], v[18:19], -v[10:11]
	v_fma_f64 v[99:100], v[91:92], s[14:15], v[99:100]
	v_add_f64 v[107:108], v[116:117], v[120:121]
	v_add_f64 v[90:91], v[30:31], v[18:19]
	v_fma_f64 v[103:104], v[126:127], s[4:5], v[109:110]
	v_fma_f64 v[109:110], v[122:123], -0.5, v[30:31]
	v_add_f64 v[116:117], v[16:17], -v[8:9]
	v_add_f64 v[122:123], v[32:33], -v[24:25]
	v_add_f64 v[118:119], v[124:125], v[22:23]
	v_add_f64 v[124:125], v[2:3], -v[6:7]
	v_fma_f64 v[30:31], v[93:94], -0.5, v[30:31]
	v_fma_f64 v[120:121], v[12:13], s[16:17], v[88:89]
	v_add_f64 v[92:93], v[14:15], -v[22:23]
	v_fma_f64 v[88:89], v[12:13], s[12:13], v[88:89]
	v_add_f64 v[14:15], v[22:23], -v[14:15]
	v_fma_f64 v[128:129], v[4:5], s[12:13], v[20:21]
	v_fma_f64 v[20:21], v[4:5], s[16:17], v[20:21]
	v_add_f64 v[97:98], v[97:98], v[32:33]
	v_add_f64 v[22:23], v[6:7], -v[2:3]
	v_add_f64 v[134:135], v[8:9], -v[24:25]
	v_fma_f64 v[136:137], v[105:106], s[16:17], v[28:29]
	v_add_f64 v[16:17], v[32:33], -v[16:17]
	v_fma_f64 v[130:131], v[101:102], s[12:13], v[60:61]
	v_fma_f64 v[60:61], v[101:102], s[16:17], v[60:61]
	v_add_f64 v[32:33], v[24:25], -v[8:9]
	v_fma_f64 v[28:29], v[105:106], s[12:13], v[28:29]
	v_add_f64 v[90:91], v[90:91], v[34:35]
	v_add_f64 v[18:19], v[34:35], -v[18:19]
	v_fma_f64 v[138:139], v[116:117], s[16:17], v[109:110]
	v_fma_f64 v[109:110], v[116:117], s[12:13], v[109:110]
	v_add_f64 v[34:35], v[26:27], -v[10:11]
	v_add_f64 v[6:7], v[118:119], v[6:7]
	v_fma_f64 v[144:145], v[122:123], s[12:13], v[30:31]
	v_fma_f64 v[30:31], v[122:123], s[16:17], v[30:31]
	;; [unrolled: 1-line block ×4, first 2 shown]
	v_add_f64 v[92:93], v[92:93], v[124:125]
	v_fma_f64 v[120:121], v[12:13], s[14:15], v[128:129]
	v_fma_f64 v[12:13], v[12:13], s[4:5], v[20:21]
	v_add_f64 v[20:21], v[97:98], v[24:25]
	v_fma_f64 v[88:89], v[4:5], s[4:5], v[88:89]
	v_add_f64 v[14:15], v[14:15], v[22:23]
	v_add_f64 v[24:25], v[132:133], v[134:135]
	;; [unrolled: 1-line block ×3, first 2 shown]
	v_fma_f64 v[22:23], v[105:106], s[4:5], v[130:131]
	v_fma_f64 v[97:98], v[105:106], s[14:15], v[60:61]
	;; [unrolled: 1-line block ×3, first 2 shown]
	v_add_f64 v[124:125], v[16:17], v[32:33]
	v_fma_f64 v[101:102], v[101:102], s[14:15], v[28:29]
	v_add_f64 v[26:27], v[90:91], v[26:27]
	v_fma_f64 v[90:91], v[122:123], s[14:15], v[138:139]
	v_fma_f64 v[109:110], v[122:123], s[4:5], v[109:110]
	v_add_f64 v[128:129], v[18:19], v[34:35]
	v_add_f64 v[0:1], v[62:63], v[0:1]
	v_fma_f64 v[122:123], v[116:117], s[14:15], v[144:145]
	v_fma_f64 v[116:117], v[116:117], s[4:5], v[30:31]
	v_add_f64 v[2:3], v[6:7], v[2:3]
	v_fma_f64 v[4:5], v[95:96], s[0:1], v[38:39]
	v_fma_f64 v[28:29], v[95:96], s[0:1], v[99:100]
	;; [unrolled: 1-line block ×4, first 2 shown]
	v_add_f64 v[60:61], v[20:21], v[8:9]
	v_mul_lo_u16 v8, v111, 5
	v_fma_f64 v[30:31], v[92:93], s[0:1], v[88:89]
	v_fma_f64 v[34:35], v[14:15], s[0:1], v[120:121]
	;; [unrolled: 1-line block ×4, first 2 shown]
	v_and_b32_e32 v8, 0xffff, v8
	v_fma_f64 v[24:25], v[24:25], s[0:1], v[97:98]
	v_fma_f64 v[16:17], v[124:125], s[0:1], v[105:106]
	v_fma_f64 v[20:21], v[124:125], s[0:1], v[101:102]
	v_add_f64 v[62:63], v[26:27], v[10:11]
	v_fma_f64 v[14:15], v[126:127], s[0:1], v[90:91]
	v_fma_f64 v[26:27], v[126:127], s[0:1], v[109:110]
	;; [unrolled: 1-line block ×3, first 2 shown]
	v_lshl_add_u32 v9, v8, 4, v155
	v_fma_f64 v[18:19], v[128:129], s[0:1], v[122:123]
	v_fma_f64 v[22:23], v[128:129], s[0:1], v[116:117]
	v_mul_u32_u24_e32 v8, 5, v115
	ds_write_b128 v9, v[44:47]
	ds_write_b128 v9, v[52:55] offset:16
	ds_write_b128 v9, v[64:67] offset:32
	ds_write_b128 v9, v[68:71] offset:48
	buffer_store_dword v9, off, s[20:23], 0 offset:352 ; 4-byte Folded Spill
	v_lshl_add_u32 v10, v8, 4, v155
	v_mul_u32_u24_e32 v8, 5, v114
	ds_write_b128 v9, v[56:59] offset:64
	ds_write_b128 v10, v[40:43]
	ds_write_b128 v10, v[48:51] offset:16
	ds_write_b128 v10, v[76:79] offset:32
	;; [unrolled: 1-line block ×3, first 2 shown]
	v_lshl_add_u32 v8, v8, 4, v155
	buffer_store_dword v10, off, s[20:23], 0 offset:356 ; 4-byte Folded Spill
	ds_write_b128 v10, v[72:75] offset:64
	ds_write_b128 v8, v[0:3]
	v_mul_u32_u24_e32 v0, 5, v82
	buffer_store_dword v0, off, s[20:23], 0 offset:372 ; 4-byte Folded Spill
	ds_write_b128 v8, v[4:7] offset:16
	ds_write_b128 v8, v[32:35] offset:32
	;; [unrolled: 1-line block ×3, first 2 shown]
	buffer_store_dword v8, off, s[20:23], 0 offset:360 ; 4-byte Folded Spill
	ds_write_b128 v8, v[28:31] offset:64
	s_and_saveexec_b32 s0, vcc_lo
	s_cbranch_execz .LBB0_7
; %bb.6:
	v_mul_u32_u24_e32 v0, 5, v82
	v_lshl_add_u32 v0, v0, 4, v155
	ds_write_b128 v0, v[60:63]
	ds_write_b128 v0, v[12:15] offset:16
	ds_write_b128 v0, v[16:19] offset:32
	;; [unrolled: 1-line block ×4, first 2 shown]
.LBB0_7:
	s_or_b32 exec_lo, exec_lo, s0
	s_waitcnt lgkmcnt(0)
	s_waitcnt_vscnt null, 0x0
	s_barrier
	buffer_gl0_inv
	ds_read_b128 v[8:11], v80
	ds_read_b128 v[4:7], v80 offset:1200
	ds_read_b128 v[68:71], v80 offset:7680
	ds_read_b128 v[48:51], v80 offset:8880
	ds_read_b128 v[64:67], v80 offset:15360
	ds_read_b128 v[44:47], v80 offset:16560
	ds_read_b128 v[76:79], v80 offset:3840
	ds_read_b128 v[0:3], v80 offset:2400
	ds_read_b128 v[56:59], v80 offset:5040
	ds_read_b128 v[40:43], v80 offset:6240
	ds_read_b128 v[72:75], v80 offset:11520
	ds_read_b128 v[36:39], v80 offset:10080
	ds_read_b128 v[52:55], v80 offset:12720
	ds_read_b128 v[32:35], v80 offset:13920
	ds_read_b128 v[28:31], v80 offset:17760
	s_and_saveexec_b32 s0, vcc_lo
	s_cbranch_execz .LBB0_9
; %bb.8:
	ds_read_b128 v[60:63], v80 offset:3600
	ds_read_b128 v[12:15], v80 offset:7440
	;; [unrolled: 1-line block ×5, first 2 shown]
.LBB0_9:
	s_or_b32 exec_lo, exec_lo, s0
	buffer_load_dword v83, off, s[20:23], 0 ; 4-byte Folded Reload
	v_mov_b32_e32 v86, 6
	v_and_b32_e32 v87, 0xff, v115
	s_mov_b32 s15, 0xbfee6f0e
	s_mov_b32 s14, s12
	;; [unrolled: 1-line block ×4, first 2 shown]
	v_mul_lo_u16 v87, 0xcd, v87
	s_mov_b32 s5, 0xbfe2cf23
	s_mov_b32 s4, s0
	;; [unrolled: 1-line block ×4, first 2 shown]
	v_lshrrev_b16 v87, 10, v87
	s_waitcnt vmcnt(0)
	v_and_b32_e32 v81, 0xff, v83
	v_mul_lo_u16 v84, 0xcd, v81
	v_lshrrev_b16 v84, 10, v84
	v_mul_lo_u16 v85, v84, 5
	v_sub_nc_u16 v85, v83, v85
	v_lshlrev_b32_sdwa v88, v86, v85 dst_sel:DWORD dst_unused:UNUSED_PAD src0_sel:DWORD src1_sel:BYTE_0
	s_clause 0x3
	global_load_dwordx4 v[168:171], v88, s[2:3]
	global_load_dwordx4 v[196:199], v88, s[2:3] offset:16
	global_load_dwordx4 v[216:219], v88, s[2:3] offset:32
	;; [unrolled: 1-line block ×3, first 2 shown]
	v_mul_lo_u16 v88, v87, 5
	v_sub_nc_u16 v88, v115, v88
	v_lshlrev_b32_sdwa v97, v86, v88 dst_sel:DWORD dst_unused:UNUSED_PAD src0_sel:DWORD src1_sel:BYTE_0
	s_clause 0x3
	global_load_dwordx4 v[204:207], v97, s[2:3]
	global_load_dwordx4 v[200:203], v97, s[2:3] offset:16
	global_load_dwordx4 v[220:223], v97, s[2:3] offset:32
	;; [unrolled: 1-line block ×3, first 2 shown]
	s_waitcnt vmcnt(7) lgkmcnt(8)
	v_mul_f64 v[89:90], v[78:79], v[170:171]
	v_mul_f64 v[91:92], v[76:77], v[170:171]
	s_waitcnt vmcnt(6)
	v_mul_f64 v[93:94], v[70:71], v[198:199]
	v_mul_f64 v[95:96], v[68:69], v[198:199]
	v_fma_f64 v[76:77], v[76:77], v[168:169], -v[89:90]
	s_waitcnt vmcnt(5) lgkmcnt(4)
	v_mul_f64 v[89:90], v[74:75], v[218:219]
	v_fma_f64 v[78:79], v[78:79], v[168:169], v[91:92]
	v_mul_f64 v[91:92], v[72:73], v[218:219]
	v_fma_f64 v[68:69], v[68:69], v[196:197], -v[93:94]
	s_waitcnt vmcnt(4)
	v_mul_f64 v[93:94], v[66:67], v[210:211]
	v_fma_f64 v[70:71], v[70:71], v[196:197], v[95:96]
	v_mul_f64 v[95:96], v[64:65], v[210:211]
	v_fma_f64 v[72:73], v[72:73], v[216:217], -v[89:90]
	s_waitcnt vmcnt(3)
	v_mul_f64 v[89:90], v[58:59], v[206:207]
	v_fma_f64 v[74:75], v[74:75], v[216:217], v[91:92]
	v_mul_f64 v[91:92], v[56:57], v[206:207]
	v_fma_f64 v[64:65], v[64:65], v[208:209], -v[93:94]
	v_fma_f64 v[66:67], v[66:67], v[208:209], v[95:96]
	v_fma_f64 v[56:57], v[56:57], v[204:205], -v[89:90]
	s_waitcnt vmcnt(2)
	v_mul_f64 v[89:90], v[50:51], v[202:203]
	v_fma_f64 v[58:59], v[58:59], v[204:205], v[91:92]
	v_mul_f64 v[91:92], v[48:49], v[202:203]
	v_fma_f64 v[89:90], v[48:49], v[200:201], -v[89:90]
	s_waitcnt vmcnt(1) lgkmcnt(2)
	v_mul_f64 v[48:49], v[54:55], v[222:223]
	v_fma_f64 v[91:92], v[50:51], v[200:201], v[91:92]
	v_add_f64 v[50:51], v[70:71], -v[78:79]
	v_fma_f64 v[93:94], v[52:53], v[220:221], -v[48:49]
	v_mul_f64 v[48:49], v[52:53], v[222:223]
	v_fma_f64 v[52:53], v[54:55], v[220:221], v[48:49]
	s_waitcnt vmcnt(0)
	v_mul_f64 v[48:49], v[46:47], v[230:231]
	v_fma_f64 v[54:55], v[44:45], v[228:229], -v[48:49]
	v_mul_f64 v[44:45], v[44:45], v[230:231]
	v_add_f64 v[48:49], v[68:69], -v[76:77]
	v_fma_f64 v[95:96], v[46:47], v[228:229], v[44:45]
	v_and_b32_e32 v44, 0xff, v114
	v_mul_lo_u16 v44, 0xcd, v44
	v_lshrrev_b16 v111, 10, v44
	v_mul_lo_u16 v44, v111, 5
	v_sub_nc_u16 v118, v114, v44
	v_lshlrev_b32_sdwa v46, v86, v118 dst_sel:DWORD dst_unused:UNUSED_PAD src0_sel:DWORD src1_sel:BYTE_0
	s_clause 0x3
	global_load_dwordx4 v[224:227], v46, s[2:3]
	global_load_dwordx4 v[212:215], v46, s[2:3] offset:16
	global_load_dwordx4 v[192:195], v46, s[2:3] offset:32
	;; [unrolled: 1-line block ×3, first 2 shown]
	v_add_f64 v[46:47], v[68:69], -v[72:73]
	s_waitcnt vmcnt(3)
	v_mul_f64 v[44:45], v[42:43], v[226:227]
	v_fma_f64 v[97:98], v[40:41], v[224:225], -v[44:45]
	v_mul_f64 v[40:41], v[40:41], v[226:227]
	v_add_f64 v[44:45], v[76:77], -v[64:65]
	v_fma_f64 v[99:100], v[42:43], v[224:225], v[40:41]
	s_waitcnt vmcnt(2)
	v_mul_f64 v[40:41], v[38:39], v[214:215]
	v_add_f64 v[42:43], v[70:71], -v[74:75]
	v_fma_f64 v[101:102], v[36:37], v[212:213], -v[40:41]
	v_mul_f64 v[36:37], v[36:37], v[214:215]
	v_add_f64 v[40:41], v[78:79], -v[66:67]
	v_fma_f64 v[103:104], v[38:39], v[212:213], v[36:37]
	s_waitcnt vmcnt(1) lgkmcnt(1)
	v_mul_f64 v[36:37], v[34:35], v[194:195]
	v_fma_f64 v[105:106], v[32:33], v[192:193], -v[36:37]
	v_mul_f64 v[32:33], v[32:33], v[194:195]
	v_fma_f64 v[107:108], v[34:35], v[192:193], v[32:33]
	s_waitcnt vmcnt(0) lgkmcnt(0)
	v_mul_f64 v[32:33], v[30:31], v[190:191]
	v_fma_f64 v[109:110], v[28:29], v[188:189], -v[32:33]
	v_mul_f64 v[28:29], v[28:29], v[190:191]
	v_fma_f64 v[116:117], v[30:31], v[188:189], v[28:29]
	v_mov_b32_e32 v28, 0xcccd
	v_mul_u32_u24_sdwa v28, v82, v28 dst_sel:DWORD dst_unused:UNUSED_PAD src0_sel:WORD_0 src1_sel:DWORD
	v_lshrrev_b32_e32 v86, 18, v28
	v_mul_lo_u16 v28, v86, 5
	v_sub_nc_u16 v119, v82, v28
	v_mov_b32_e32 v28, 4
	v_lshlrev_b16 v29, 2, v119
	v_lshlrev_b32_sdwa v32, v28, v29 dst_sel:DWORD dst_unused:UNUSED_PAD src0_sel:DWORD src1_sel:WORD_0
	s_clause 0x3
	global_load_dwordx4 v[184:187], v32, s[2:3]
	global_load_dwordx4 v[180:183], v32, s[2:3] offset:16
	global_load_dwordx4 v[176:179], v32, s[2:3] offset:32
	;; [unrolled: 1-line block ×3, first 2 shown]
	s_waitcnt vmcnt(0)
	s_barrier
	buffer_gl0_inv
	v_mul_f64 v[28:29], v[14:15], v[186:187]
	v_fma_f64 v[28:29], v[12:13], v[184:185], -v[28:29]
	v_mul_f64 v[12:13], v[12:13], v[186:187]
	v_fma_f64 v[30:31], v[14:15], v[184:185], v[12:13]
	v_mul_f64 v[12:13], v[18:19], v[182:183]
	v_mul_f64 v[14:15], v[16:17], v[182:183]
	v_fma_f64 v[12:13], v[16:17], v[180:181], -v[12:13]
	v_fma_f64 v[14:15], v[18:19], v[180:181], v[14:15]
	v_mul_f64 v[16:17], v[22:23], v[178:179]
	v_mul_f64 v[18:19], v[20:21], v[178:179]
	v_fma_f64 v[16:17], v[20:21], v[176:177], -v[16:17]
	;; [unrolled: 4-line block ×3, first 2 shown]
	v_fma_f64 v[22:23], v[26:27], v[164:165], v[22:23]
	v_add_f64 v[24:25], v[76:77], -v[68:69]
	v_add_f64 v[26:27], v[64:65], -v[72:73]
	v_add_f64 v[32:33], v[24:25], v[26:27]
	v_add_f64 v[24:25], v[78:79], -v[70:71]
	v_add_f64 v[26:27], v[66:67], -v[74:75]
	v_add_f64 v[34:35], v[24:25], v[26:27]
	v_add_f64 v[24:25], v[68:69], v[72:73]
	v_fma_f64 v[36:37], v[24:25], -0.5, v[8:9]
	v_add_f64 v[24:25], v[70:71], v[74:75]
	v_fma_f64 v[38:39], v[24:25], -0.5, v[10:11]
	v_fma_f64 v[24:25], v[40:41], s[12:13], v[36:37]
	v_fma_f64 v[36:37], v[40:41], s[14:15], v[36:37]
	;; [unrolled: 1-line block ×10, first 2 shown]
	v_add_f64 v[36:37], v[76:77], v[64:65]
	v_fma_f64 v[26:27], v[34:35], s[16:17], v[26:27]
	v_fma_f64 v[34:35], v[34:35], s[16:17], v[38:39]
	v_add_f64 v[38:39], v[78:79], v[66:67]
	v_fma_f64 v[36:37], v[36:37], -0.5, v[8:9]
	v_add_f64 v[8:9], v[8:9], v[76:77]
	v_add_f64 v[76:77], v[93:94], -v[54:55]
	v_fma_f64 v[38:39], v[38:39], -0.5, v[10:11]
	v_add_f64 v[10:11], v[10:11], v[78:79]
	v_add_f64 v[78:79], v[103:104], -v[107:108]
	v_add_f64 v[8:9], v[8:9], v[68:69]
	v_add_f64 v[68:69], v[72:73], -v[64:65]
	;; [unrolled: 2-line block ×4, first 2 shown]
	v_add_f64 v[10:11], v[10:11], v[74:75]
	v_add_f64 v[8:9], v[8:9], v[64:65]
	v_add_f64 v[64:65], v[74:75], -v[66:67]
	v_add_f64 v[74:75], v[89:90], -v[93:94]
	v_add_f64 v[10:11], v[10:11], v[66:67]
	v_fma_f64 v[66:67], v[42:43], s[14:15], v[36:37]
	v_fma_f64 v[36:37], v[42:43], s[12:13], v[36:37]
	;; [unrolled: 1-line block ×4, first 2 shown]
	v_add_f64 v[46:47], v[48:49], v[68:69]
	v_add_f64 v[48:49], v[50:51], v[64:65]
	v_add_f64 v[68:69], v[58:59], -v[95:96]
	v_fma_f64 v[50:51], v[40:41], s[0:1], v[66:67]
	v_fma_f64 v[40:41], v[40:41], s[4:5], v[36:37]
	;; [unrolled: 1-line block ×8, first 2 shown]
	v_add_f64 v[44:45], v[56:57], -v[89:90]
	v_add_f64 v[46:47], v[54:55], -v[93:94]
	v_add_f64 v[48:49], v[44:45], v[46:47]
	v_add_f64 v[44:45], v[58:59], -v[91:92]
	v_add_f64 v[46:47], v[95:96], -v[52:53]
	v_add_f64 v[50:51], v[44:45], v[46:47]
	v_add_f64 v[44:45], v[89:90], v[93:94]
	v_fma_f64 v[64:65], v[44:45], -0.5, v[4:5]
	v_add_f64 v[44:45], v[91:92], v[52:53]
	v_fma_f64 v[66:67], v[44:45], -0.5, v[6:7]
	v_fma_f64 v[44:45], v[68:69], s[12:13], v[64:65]
	v_fma_f64 v[64:65], v[68:69], s[14:15], v[64:65]
	;; [unrolled: 1-line block ×10, first 2 shown]
	v_add_f64 v[64:65], v[56:57], v[54:55]
	v_fma_f64 v[46:47], v[50:51], s[16:17], v[46:47]
	v_fma_f64 v[50:51], v[50:51], s[16:17], v[66:67]
	v_add_f64 v[66:67], v[58:59], v[95:96]
	v_fma_f64 v[64:65], v[64:65], -0.5, v[4:5]
	v_add_f64 v[4:5], v[4:5], v[56:57]
	v_add_f64 v[56:57], v[89:90], -v[56:57]
	v_fma_f64 v[66:67], v[66:67], -0.5, v[6:7]
	v_add_f64 v[6:7], v[6:7], v[58:59]
	v_add_f64 v[4:5], v[4:5], v[89:90]
	v_add_f64 v[58:59], v[91:92], -v[58:59]
	v_add_f64 v[56:57], v[56:57], v[76:77]
	v_add_f64 v[89:90], v[97:98], -v[109:110]
	v_add_f64 v[76:77], v[99:100], -v[116:117]
	v_add_f64 v[6:7], v[6:7], v[91:92]
	v_add_f64 v[4:5], v[4:5], v[93:94]
	v_add_f64 v[91:92], v[101:102], -v[105:106]
	v_add_f64 v[93:94], v[101:102], -v[97:98]
	v_add_f64 v[6:7], v[6:7], v[52:53]
	v_add_f64 v[4:5], v[4:5], v[54:55]
	v_add_f64 v[52:53], v[52:53], -v[95:96]
	v_fma_f64 v[54:55], v[70:71], s[14:15], v[64:65]
	v_fma_f64 v[64:65], v[70:71], s[12:13], v[64:65]
	;; [unrolled: 1-line block ×4, first 2 shown]
	v_add_f64 v[6:7], v[6:7], v[95:96]
	v_add_f64 v[95:96], v[103:104], -v[99:100]
	v_add_f64 v[58:59], v[58:59], v[52:53]
	v_fma_f64 v[52:53], v[68:69], s[0:1], v[54:55]
	v_fma_f64 v[64:65], v[68:69], s[4:5], v[64:65]
	;; [unrolled: 1-line block ×8, first 2 shown]
	v_add_f64 v[64:65], v[97:98], -v[101:102]
	v_add_f64 v[66:67], v[109:110], -v[105:106]
	v_add_f64 v[68:69], v[64:65], v[66:67]
	v_add_f64 v[64:65], v[99:100], -v[103:104]
	v_add_f64 v[66:67], v[116:117], -v[107:108]
	v_add_f64 v[70:71], v[64:65], v[66:67]
	v_add_f64 v[64:65], v[101:102], v[105:106]
	v_fma_f64 v[72:73], v[64:65], -0.5, v[0:1]
	v_add_f64 v[64:65], v[103:104], v[107:108]
	v_fma_f64 v[74:75], v[64:65], -0.5, v[2:3]
	v_fma_f64 v[64:65], v[76:77], s[12:13], v[72:73]
	v_fma_f64 v[72:73], v[76:77], s[14:15], v[72:73]
	;; [unrolled: 1-line block ×10, first 2 shown]
	v_add_f64 v[72:73], v[97:98], v[109:110]
	v_fma_f64 v[66:67], v[70:71], s[16:17], v[66:67]
	v_fma_f64 v[70:71], v[70:71], s[16:17], v[74:75]
	v_add_f64 v[74:75], v[99:100], v[116:117]
	v_fma_f64 v[72:73], v[72:73], -0.5, v[0:1]
	v_add_f64 v[0:1], v[0:1], v[97:98]
	v_add_f64 v[97:98], v[105:106], -v[109:110]
	v_fma_f64 v[74:75], v[74:75], -0.5, v[2:3]
	v_add_f64 v[2:3], v[2:3], v[99:100]
	v_add_f64 v[99:100], v[107:108], -v[116:117]
	v_add_f64 v[0:1], v[0:1], v[101:102]
	v_fma_f64 v[101:102], v[78:79], s[14:15], v[72:73]
	v_fma_f64 v[72:73], v[78:79], s[12:13], v[72:73]
	;; [unrolled: 1-line block ×3, first 2 shown]
	v_add_f64 v[2:3], v[2:3], v[103:104]
	v_mov_b32_e32 v103, 25
	v_fma_f64 v[74:75], v[91:92], s[14:15], v[74:75]
	v_add_f64 v[91:92], v[93:94], v[97:98]
	v_add_f64 v[93:94], v[95:96], v[99:100]
	v_fma_f64 v[95:96], v[76:77], s[0:1], v[101:102]
	v_mul_u32_u24_sdwa v84, v84, v103 dst_sel:DWORD dst_unused:UNUSED_PAD src0_sel:WORD_0 src1_sel:DWORD
	v_fma_f64 v[76:77], v[76:77], s[4:5], v[72:73]
	v_add_f64 v[97:98], v[28:29], -v[18:19]
	v_add_f64 v[99:100], v[12:13], -v[16:17]
	v_add_f64 v[0:1], v[0:1], v[105:106]
	v_add_nc_u32_sdwa v84, v84, v85 dst_sel:DWORD dst_unused:UNUSED_PAD src0_sel:DWORD src1_sel:BYTE_0
	v_lshl_add_u32 v83, v84, 4, v155
	v_add_f64 v[84:85], v[22:23], -v[20:21]
	ds_write_b128 v83, v[8:11]
	v_add_f64 v[8:9], v[28:29], -v[12:13]
	v_add_f64 v[10:11], v[18:19], -v[16:17]
	v_fma_f64 v[78:79], v[89:90], s[4:5], v[78:79]
	v_fma_f64 v[89:90], v[89:90], s[0:1], v[74:75]
	v_add_f64 v[2:3], v[2:3], v[107:108]
	v_fma_f64 v[72:73], v[91:92], s[16:17], v[95:96]
	ds_write_b128 v83, v[24:27] offset:80
	ds_write_b128 v83, v[36:39] offset:160
	ds_write_b128 v83, v[40:43] offset:240
	v_fma_f64 v[76:77], v[91:92], s[16:17], v[76:77]
	v_add_f64 v[91:92], v[30:31], -v[22:23]
	buffer_store_dword v83, off, s[20:23], 0 offset:340 ; 4-byte Folded Spill
	v_add_f64 v[0:1], v[0:1], v[109:110]
	ds_write_b128 v83, v[32:35] offset:320
	v_add_f64 v[8:9], v[8:9], v[10:11]
	v_add_f64 v[10:11], v[30:31], -v[14:15]
	v_fma_f64 v[74:75], v[93:94], s[16:17], v[78:79]
	v_fma_f64 v[78:79], v[93:94], s[16:17], v[89:90]
	v_add_f64 v[89:90], v[14:15], v[20:21]
	v_add_f64 v[93:94], v[14:15], -v[20:21]
	v_add_f64 v[2:3], v[2:3], v[116:117]
	v_add_f64 v[10:11], v[10:11], v[84:85]
	;; [unrolled: 1-line block ×3, first 2 shown]
	v_fma_f64 v[89:90], v[89:90], -0.5, v[62:63]
	v_fma_f64 v[84:85], v[84:85], -0.5, v[60:61]
	v_fma_f64 v[101:102], v[97:98], s[14:15], v[89:90]
	v_fma_f64 v[89:90], v[97:98], s[12:13], v[89:90]
	;; [unrolled: 1-line block ×10, first 2 shown]
	v_add_f64 v[10:11], v[16:17], -v[18:19]
	v_add_f64 v[89:90], v[30:31], v[22:23]
	v_fma_f64 v[240:241], v[8:9], s[16:17], v[95:96]
	v_fma_f64 v[232:233], v[8:9], s[16:17], v[84:85]
	v_add_f64 v[8:9], v[12:13], -v[28:29]
	v_add_f64 v[95:96], v[14:15], -v[30:31]
	v_fma_f64 v[89:90], v[89:90], -0.5, v[62:63]
	v_add_f64 v[8:9], v[8:9], v[10:11]
	v_add_f64 v[10:11], v[28:29], v[18:19]
	v_fma_f64 v[10:11], v[10:11], -0.5, v[60:61]
	v_fma_f64 v[84:85], v[93:94], s[14:15], v[10:11]
	v_fma_f64 v[10:11], v[93:94], s[12:13], v[10:11]
	;; [unrolled: 1-line block ×4, first 2 shown]
	v_add_f64 v[99:100], v[20:21], -v[22:23]
	v_fma_f64 v[84:85], v[91:92], s[0:1], v[84:85]
	v_fma_f64 v[10:11], v[91:92], s[4:5], v[10:11]
	;; [unrolled: 1-line block ×4, first 2 shown]
	v_add_f64 v[95:96], v[95:96], v[99:100]
	v_fma_f64 v[244:245], v[8:9], s[16:17], v[84:85]
	v_fma_f64 v[236:237], v[8:9], s[16:17], v[10:11]
	v_mul_u32_u24_sdwa v8, v87, v103 dst_sel:DWORD dst_unused:UNUSED_PAD src0_sel:WORD_0 src1_sel:DWORD
	v_fma_f64 v[246:247], v[95:96], s[16:17], v[91:92]
	v_fma_f64 v[238:239], v[95:96], s[16:17], v[89:90]
	v_add_nc_u32_sdwa v8, v8, v88 dst_sel:DWORD dst_unused:UNUSED_PAD src0_sel:DWORD src1_sel:BYTE_0
	v_lshl_add_u32 v8, v8, 4, v155
	ds_write_b128 v8, v[4:7]
	ds_write_b128 v8, v[44:47] offset:80
	ds_write_b128 v8, v[52:55] offset:160
	;; [unrolled: 1-line block ×3, first 2 shown]
	v_mul_u32_u24_sdwa v4, v111, v103 dst_sel:DWORD dst_unused:UNUSED_PAD src0_sel:WORD_0 src1_sel:DWORD
	buffer_store_dword v8, off, s[20:23], 0 offset:348 ; 4-byte Folded Spill
	ds_write_b128 v8, v[48:51] offset:320
	v_add_nc_u32_sdwa v4, v4, v118 dst_sel:DWORD dst_unused:UNUSED_PAD src0_sel:DWORD src1_sel:BYTE_0
	v_lshl_add_u32 v4, v4, 4, v155
	ds_write_b128 v4, v[0:3]
	ds_write_b128 v4, v[64:67] offset:80
	v_mad_u16 v0, v86, 25, v119
	buffer_store_dword v0, off, s[20:23], 0 offset:336 ; 4-byte Folded Spill
	ds_write_b128 v4, v[72:75] offset:160
	ds_write_b128 v4, v[76:79] offset:240
	buffer_store_dword v4, off, s[20:23], 0 offset:344 ; 4-byte Folded Spill
	ds_write_b128 v4, v[68:71] offset:320
	s_and_saveexec_b32 s0, vcc_lo
	s_cbranch_execz .LBB0_11
; %bb.10:
	v_add_f64 v[0:1], v[62:63], v[30:31]
	v_add_f64 v[2:3], v[60:61], v[28:29]
	;; [unrolled: 1-line block ×8, first 2 shown]
	buffer_load_dword v4, off, s[20:23], 0 offset:336 ; 4-byte Folded Reload
	s_waitcnt vmcnt(0)
	v_and_b32_e32 v4, 0xffff, v4
	v_lshl_add_u32 v4, v4, 4, v155
	ds_write_b128 v4, v[240:243] offset:80
	ds_write_b128 v4, v[244:247] offset:160
	;; [unrolled: 1-line block ×3, first 2 shown]
	ds_write_b128 v4, v[0:3]
	ds_write_b128 v4, v[232:235] offset:320
.LBB0_11:
	s_or_b32 exec_lo, exec_lo, s0
	buffer_load_dword v154, off, s[20:23], 0 ; 4-byte Folded Reload
	v_mul_lo_u16 v0, v81, 41
	s_waitcnt vmcnt(0) lgkmcnt(0)
	s_waitcnt_vscnt null, 0x0
	s_barrier
	buffer_gl0_inv
	s_mov_b32 s0, 0x667f3bcd
	v_lshrrev_b16 v20, 10, v0
	s_mov_b32 s1, 0xbfe6a09e
	s_mov_b32 s5, 0x3fe6a09e
	;; [unrolled: 1-line block ×4, first 2 shown]
	v_mul_lo_u16 v0, v20, 25
	s_mov_b32 s13, 0xbfed906b
	s_mov_b32 s19, 0x3fed906b
	;; [unrolled: 1-line block ×7, first 2 shown]
	v_sub_nc_u16 v0, v154, v0
	v_and_b32_e32 v21, 0xff, v0
	v_mad_u64_u32 v[38:39], null, 0xf0, v21, s[2:3]
	s_clause 0xd
	global_load_dwordx4 v[88:91], v[38:39], off offset:320
	global_load_dwordx4 v[84:87], v[38:39], off offset:336
	;; [unrolled: 1-line block ×14, first 2 shown]
	ds_read_b128 v[0:3], v80 offset:1200
	ds_read_b128 v[4:7], v80 offset:2400
	;; [unrolled: 1-line block ×5, first 2 shown]
	ds_read_b128 v[22:25], v80
	ds_read_b128 v[26:29], v80 offset:7200
	ds_read_b128 v[30:33], v80 offset:8400
	;; [unrolled: 1-line block ×3, first 2 shown]
	s_waitcnt vmcnt(13) lgkmcnt(8)
	v_mul_f64 v[40:41], v[2:3], v[90:91]
	v_mul_f64 v[42:43], v[0:1], v[90:91]
	s_waitcnt vmcnt(11) lgkmcnt(6)
	v_mul_f64 v[48:49], v[10:11], v[66:67]
	v_mul_f64 v[50:51], v[8:9], v[66:67]
	s_waitcnt vmcnt(10) lgkmcnt(5)
	v_mul_f64 v[52:53], v[14:15], v[70:71]
	s_waitcnt vmcnt(8) lgkmcnt(2)
	v_mul_f64 v[60:61], v[28:29], v[98:99]
	v_mul_f64 v[44:45], v[6:7], v[86:87]
	;; [unrolled: 1-line block ×7, first 2 shown]
	v_fma_f64 v[40:41], v[0:1], v[88:89], -v[40:41]
	v_fma_f64 v[42:43], v[2:3], v[88:89], v[42:43]
	ds_read_b128 v[0:3], v80 offset:10800
	v_fma_f64 v[48:49], v[8:9], v[64:65], -v[48:49]
	buffer_store_dword v64, off, s[20:23], 0 offset:288 ; 4-byte Folded Spill
	buffer_store_dword v65, off, s[20:23], 0 offset:292 ; 4-byte Folded Spill
	;; [unrolled: 1-line block ×4, first 2 shown]
	v_fma_f64 v[52:53], v[12:13], v[68:69], -v[52:53]
	s_waitcnt vmcnt(7) lgkmcnt(2)
	v_mul_f64 v[12:13], v[32:33], v[94:95]
	v_fma_f64 v[26:27], v[26:27], v[96:97], -v[60:61]
	v_fma_f64 v[44:45], v[4:5], v[84:85], -v[44:45]
	v_fma_f64 v[46:47], v[6:7], v[84:85], v[46:47]
	v_fma_f64 v[54:55], v[14:15], v[68:69], v[54:55]
	v_mul_f64 v[14:15], v[30:31], v[94:95]
	v_fma_f64 v[28:29], v[28:29], v[96:97], v[62:63]
	v_fma_f64 v[56:57], v[16:17], v[100:101], -v[56:57]
	v_fma_f64 v[58:59], v[18:19], v[100:101], v[58:59]
	s_waitcnt vmcnt(6) lgkmcnt(1)
	v_mul_f64 v[16:17], v[36:37], v[110:111]
	v_mul_f64 v[18:19], v[34:35], v[110:111]
	s_waitcnt vmcnt(5) lgkmcnt(0)
	v_mul_f64 v[60:61], v[2:3], v[106:107]
	v_mul_f64 v[62:63], v[0:1], v[106:107]
	v_fma_f64 v[30:31], v[30:31], v[92:93], -v[12:13]
	v_fma_f64 v[16:17], v[34:35], v[108:109], -v[16:17]
	v_fma_f64 v[18:19], v[36:37], v[108:109], v[18:19]
	v_fma_f64 v[60:61], v[0:1], v[104:105], -v[60:61]
	v_fma_f64 v[50:51], v[10:11], v[64:65], v[50:51]
	ds_read_b128 v[4:7], v80 offset:12000
	ds_read_b128 v[8:11], v80 offset:13200
	buffer_store_dword v92, off, s[20:23], 0 offset:304 ; 4-byte Folded Spill
	buffer_store_dword v93, off, s[20:23], 0 offset:308 ; 4-byte Folded Spill
	;; [unrolled: 1-line block ×8, first 2 shown]
	s_waitcnt vmcnt(4) lgkmcnt(1)
	v_mul_f64 v[12:13], v[6:7], v[134:135]
	s_waitcnt vmcnt(3) lgkmcnt(0)
	v_mul_f64 v[34:35], v[10:11], v[74:75]
	v_mul_f64 v[36:37], v[8:9], v[74:75]
	v_fma_f64 v[12:13], v[4:5], v[132:133], -v[12:13]
	v_fma_f64 v[34:35], v[8:9], v[72:73], -v[34:35]
	v_fma_f64 v[36:37], v[10:11], v[72:73], v[36:37]
	v_fma_f64 v[32:33], v[32:33], v[92:93], v[14:15]
	v_mul_f64 v[14:15], v[4:5], v[134:135]
	v_fma_f64 v[62:63], v[2:3], v[104:105], v[62:63]
	ds_read_b128 v[0:3], v80 offset:14400
	v_fma_f64 v[14:15], v[6:7], v[132:133], v[14:15]
	ds_read_b128 v[4:7], v80 offset:15600
	s_waitcnt vmcnt(2) lgkmcnt(1)
	v_mul_f64 v[8:9], v[2:3], v[138:139]
	v_mul_f64 v[10:11], v[0:1], v[138:139]
	v_fma_f64 v[8:9], v[0:1], v[136:137], -v[8:9]
	v_fma_f64 v[10:11], v[2:3], v[136:137], v[10:11]
	s_waitcnt vmcnt(1) lgkmcnt(0)
	v_mul_f64 v[0:1], v[6:7], v[78:79]
	v_mul_f64 v[2:3], v[4:5], v[78:79]
	v_add_f64 v[118:119], v[52:53], -v[8:9]
	v_add_f64 v[120:121], v[54:55], -v[10:11]
	v_fma_f64 v[64:65], v[4:5], v[76:77], -v[0:1]
	v_fma_f64 v[66:67], v[6:7], v[76:77], v[2:3]
	ds_read_b128 v[0:3], v80 offset:16800
	ds_read_b128 v[4:7], v80 offset:18000
	v_add_f64 v[8:9], v[44:45], -v[12:13]
	v_add_f64 v[10:11], v[46:47], -v[14:15]
	v_add_f64 v[12:13], v[42:43], -v[62:63]
	v_add_f64 v[14:15], v[40:41], -v[60:61]
	buffer_store_dword v155, off, s[20:23], 0 offset:4 ; 4-byte Folded Spill
	s_waitcnt vmcnt(0) lgkmcnt(1)
	v_mul_f64 v[92:93], v[2:3], v[174:175]
	v_add_f64 v[60:61], v[56:57], -v[64:65]
	v_add_f64 v[62:63], v[58:59], -v[66:67]
	v_fma_f64 v[42:43], v[42:43], 2.0, -v[12:13]
	v_fma_f64 v[40:41], v[40:41], 2.0, -v[14:15]
	v_fma_f64 v[104:105], v[0:1], v[172:173], -v[92:93]
	global_load_dwordx4 v[92:95], v[38:39], off offset:544
	v_mul_f64 v[0:1], v[0:1], v[174:175]
	s_waitcnt vmcnt(0) lgkmcnt(0)
	s_waitcnt_vscnt null, 0x0
	s_barrier
	buffer_gl0_inv
	v_add_f64 v[104:105], v[26:27], -v[104:105]
	v_fma_f64 v[0:1], v[2:3], v[172:173], v[0:1]
	v_fma_f64 v[26:27], v[26:27], 2.0, -v[104:105]
	v_add_f64 v[104:105], v[10:11], v[104:105]
	v_add_f64 v[0:1], v[28:29], -v[0:1]
	v_fma_f64 v[28:29], v[28:29], 2.0, -v[0:1]
	v_add_f64 v[130:131], v[8:9], -v[0:1]
	v_mul_f64 v[2:3], v[6:7], v[94:95]
	v_fma_f64 v[2:3], v[4:5], v[92:93], -v[2:3]
	v_mul_f64 v[4:5], v[4:5], v[94:95]
	v_add_f64 v[2:3], v[30:31], -v[2:3]
	v_fma_f64 v[38:39], v[6:7], v[92:93], v[4:5]
	v_add_f64 v[6:7], v[24:25], -v[18:19]
	v_add_f64 v[18:19], v[48:49], -v[34:35]
	;; [unrolled: 1-line block ×4, first 2 shown]
	v_fma_f64 v[36:37], v[44:45], 2.0, -v[8:9]
	v_fma_f64 v[44:45], v[56:57], 2.0, -v[60:61]
	v_add_f64 v[60:61], v[12:13], v[60:61]
	v_fma_f64 v[30:31], v[30:31], 2.0, -v[2:3]
	v_add_f64 v[34:35], v[32:33], -v[38:39]
	v_fma_f64 v[116:117], v[24:25], 2.0, -v[6:7]
	v_fma_f64 v[24:25], v[54:55], 2.0, -v[120:121]
	;; [unrolled: 1-line block ×8, first 2 shown]
	v_add_f64 v[56:57], v[36:37], -v[26:27]
	v_add_f64 v[44:45], v[40:41], -v[44:45]
	;; [unrolled: 1-line block ×3, first 2 shown]
	v_add_f64 v[118:119], v[6:7], v[118:119]
	v_add_f64 v[62:63], v[14:15], -v[62:63]
	v_add_f64 v[142:143], v[16:17], v[2:3]
	v_fma_f64 v[32:33], v[32:33], 2.0, -v[34:35]
	v_add_f64 v[140:141], v[18:19], -v[34:35]
	v_add_f64 v[54:55], v[116:117], -v[24:25]
	;; [unrolled: 1-line block ×6, first 2 shown]
	v_fma_f64 v[0:1], v[130:131], s[4:5], v[120:121]
	v_fma_f64 v[14:15], v[14:15], 2.0, -v[62:63]
	v_add_f64 v[64:65], v[50:51], -v[32:33]
	v_fma_f64 v[18:19], v[18:19], 2.0, -v[140:141]
	v_add_f64 v[124:125], v[54:55], v[56:57]
	v_fma_f64 v[42:43], v[42:43], 2.0, -v[46:47]
	v_add_f64 v[28:29], v[46:47], v[66:67]
	v_add_f64 v[122:123], v[52:53], -v[58:59]
	v_fma_f64 v[144:145], v[104:105], s[0:1], v[0:1]
	v_fma_f64 v[0:1], v[104:105], s[4:5], v[118:119]
	v_add_f64 v[26:27], v[44:45], -v[64:65]
	v_fma_f64 v[128:129], v[54:55], 2.0, -v[124:125]
	v_fma_f64 v[54:55], v[116:117], 2.0, -v[54:55]
	v_fma_f64 v[24:25], v[28:29], s[4:5], v[124:125]
	v_fma_f64 v[126:127], v[52:53], 2.0, -v[122:123]
	v_fma_f64 v[52:53], v[106:107], 2.0, -v[52:53]
	;; [unrolled: 1-line block ×3, first 2 shown]
	v_fma_f64 v[146:147], v[130:131], s[4:5], v[0:1]
	v_fma_f64 v[0:1], v[140:141], s[4:5], v[62:63]
	v_fma_f64 v[22:23], v[26:27], s[4:5], v[122:123]
	v_fma_f64 v[30:31], v[44:45], 2.0, -v[26:27]
	v_fma_f64 v[44:45], v[40:41], 2.0, -v[44:45]
	;; [unrolled: 1-line block ×3, first 2 shown]
	v_fma_f64 v[24:25], v[26:27], s[4:5], v[24:25]
	v_fma_f64 v[26:27], v[46:47], 2.0, -v[28:29]
	v_mov_b32_e32 v46, 0x190
	v_fma_f64 v[150:151], v[118:119], 2.0, -v[146:147]
	v_mul_u32_u24_sdwa v20, v20, v46 dst_sel:DWORD dst_unused:UNUSED_PAD src0_sel:WORD_0 src1_sel:DWORD
	v_fma_f64 v[22:23], v[28:29], s[0:1], v[22:23]
	v_fma_f64 v[28:29], v[30:31], s[0:1], v[126:127]
	;; [unrolled: 1-line block ×7, first 2 shown]
	v_fma_f64 v[34:35], v[62:63], 2.0, -v[30:31]
	v_fma_f64 v[32:33], v[140:141], s[4:5], v[0:1]
	v_fma_f64 v[0:1], v[30:31], s[18:19], v[144:145]
	;; [unrolled: 1-line block ×5, first 2 shown]
	v_fma_f64 v[30:31], v[60:61], 2.0, -v[32:33]
	v_fma_f64 v[32:33], v[34:35], s[14:15], v[148:149]
	v_fma_f64 v[152:153], v[30:31], s[14:15], v[150:151]
	;; [unrolled: 1-line block ×4, first 2 shown]
	v_fma_f64 v[34:35], v[36:37], 2.0, -v[56:57]
	v_fma_f64 v[36:37], v[38:39], 2.0, -v[58:59]
	;; [unrolled: 1-line block ×3, first 2 shown]
	v_add_nc_u32_e32 v56, v20, v21
	v_add_f64 v[50:51], v[44:45], -v[40:41]
	v_lshl_add_u32 v81, v56, 4, v155
	v_add_f64 v[20:21], v[52:53], -v[34:35]
	v_add_f64 v[46:47], v[54:55], -v[36:37]
	;; [unrolled: 1-line block ×3, first 2 shown]
	v_add_f64 v[36:37], v[46:47], v[50:51]
	v_add_f64 v[34:35], v[20:21], -v[48:49]
	v_fma_f64 v[40:41], v[46:47], 2.0, -v[36:37]
	ds_write_b128 v81, v[34:37] offset:4800
	v_fma_f64 v[36:37], v[6:7], 2.0, -v[118:119]
	v_fma_f64 v[6:7], v[10:11], 2.0, -v[104:105]
	;; [unrolled: 1-line block ×7, first 2 shown]
	v_fma_f64 v[12:13], v[18:19], s[0:1], v[14:15]
	v_fma_f64 v[20:21], v[52:53], 2.0, -v[20:21]
	v_fma_f64 v[46:47], v[54:55], 2.0, -v[46:47]
	v_fma_f64 v[52:53], v[150:151], 2.0, -v[32:33]
	v_fma_f64 v[16:17], v[6:7], s[0:1], v[36:37]
	v_fma_f64 v[12:13], v[10:11], s[0:1], v[12:13]
	v_fma_f64 v[10:11], v[10:11], s[0:1], v[8:9]
	v_fma_f64 v[56:57], v[4:5], s[4:5], v[16:17]
	v_fma_f64 v[4:5], v[4:5], s[0:1], v[34:35]
	v_fma_f64 v[14:15], v[14:15], 2.0, -v[12:13]
	v_fma_f64 v[10:11], v[18:19], s[4:5], v[10:11]
	v_fma_f64 v[18:19], v[124:125], 2.0, -v[24:25]
	v_fma_f64 v[62:63], v[36:37], 2.0, -v[56:57]
	v_fma_f64 v[58:59], v[6:7], s[0:1], v[4:5]
	v_fma_f64 v[36:37], v[146:147], 2.0, -v[2:3]
	v_cmp_gt_u16_e64 s0, 25, v154
	v_fma_f64 v[4:5], v[10:11], s[16:17], v[56:57]
	v_fma_f64 v[8:9], v[8:9], 2.0, -v[10:11]
	v_fma_f64 v[16:17], v[12:13], s[16:17], v[58:59]
	v_fma_f64 v[60:61], v[34:35], 2.0, -v[58:59]
	v_fma_f64 v[34:35], v[144:145], 2.0, -v[0:1]
	v_fma_f64 v[6:7], v[12:13], s[18:19], v[4:5]
	v_fma_f64 v[12:13], v[8:9], s[12:13], v[62:63]
	;; [unrolled: 1-line block ×4, first 2 shown]
	v_fma_f64 v[16:17], v[122:123], 2.0, -v[22:23]
	v_fma_f64 v[56:57], v[56:57], 2.0, -v[6:7]
	;; [unrolled: 1-line block ×3, first 2 shown]
	v_fma_f64 v[8:9], v[8:9], s[14:15], v[10:11]
	v_fma_f64 v[10:11], v[14:15], s[16:17], v[12:13]
	v_fma_f64 v[12:13], v[44:45], 2.0, -v[50:51]
	v_fma_f64 v[14:15], v[42:43], 2.0, -v[48:49]
	;; [unrolled: 1-line block ×6, first 2 shown]
	v_add_f64 v[12:13], v[20:21], -v[12:13]
	v_add_f64 v[14:15], v[46:47], -v[14:15]
	v_fma_f64 v[42:43], v[20:21], 2.0, -v[12:13]
	v_fma_f64 v[44:45], v[46:47], 2.0, -v[14:15]
	;; [unrolled: 1-line block ×3, first 2 shown]
	ds_write_b128 v81, v[22:25] offset:5600
	ds_write_b128 v81, v[0:3] offset:6000
	;; [unrolled: 1-line block ×9, first 2 shown]
	ds_write_b128 v81, v[42:45]
	ds_write_b128 v81, v[46:49] offset:800
	ds_write_b128 v81, v[50:53] offset:1200
	;; [unrolled: 1-line block ×5, first 2 shown]
	s_waitcnt lgkmcnt(0)
	s_barrier
	buffer_gl0_inv
	ds_read_b128 v[20:23], v80
	ds_read_b128 v[16:19], v80 offset:1200
	ds_read_b128 v[56:59], v80 offset:12800
	;; [unrolled: 1-line block ×14, first 2 shown]
	s_and_saveexec_b32 s1, s0
	s_cbranch_execz .LBB0_13
; %bb.12:
	ds_read_b128 v[0:3], v80 offset:6000
	ds_read_b128 v[240:243], v80 offset:12400
	;; [unrolled: 1-line block ×3, first 2 shown]
.LBB0_13:
	s_or_b32 exec_lo, exec_lo, s1
	buffer_load_dword v83, off, s[20:23], 0 ; 4-byte Folded Reload
	s_mov_b32 s5, 0xbfebb67a
	s_waitcnt vmcnt(0)
	v_lshlrev_b32_e32 v66, 5, v83
	v_add_co_u32 v67, s1, s2, v66
	v_add_co_ci_u32_e64 v116, null, s3, 0, s1
	v_add_nc_u32_e32 v66, 0x2580, v66
	v_add_co_u32 v64, s1, 0x1800, v67
	v_add_co_ci_u32_e64 v65, s1, 0, v116, s1
	global_load_dwordx4 v[104:107], v[64:65], off offset:176
	v_add_co_u32 v64, s1, 0x18b0, v67
	v_lshlrev_b32_e32 v67, 5, v115
	v_add_co_ci_u32_e64 v65, s1, 0, v116, s1
	v_add_co_u32 v67, s1, s2, v67
	global_load_dwordx4 v[116:119], v[64:65], off offset:16
	v_add_co_ci_u32_e64 v115, null, s3, 0, s1
	v_add_co_u32 v64, s1, 0x1800, v67
	v_add_co_ci_u32_e64 v65, s1, 0, v115, s1
	global_load_dwordx4 v[120:123], v[64:65], off offset:176
	v_add_co_u32 v64, s1, 0x18b0, v67
	v_lshlrev_b32_e32 v67, 5, v114
	v_add_co_ci_u32_e64 v65, s1, 0, v115, s1
	v_add_co_u32 v67, s1, s2, v67
	global_load_dwordx4 v[140:143], v[64:65], off offset:16
	v_add_co_ci_u32_e64 v114, null, s3, 0, s1
	;; [unrolled: 9-line block ×3, first 2 shown]
	v_add_co_u32 v64, s1, 0x1800, v67
	v_add_co_ci_u32_e64 v65, s1, 0, v82, s1
	global_load_dwordx4 v[148:151], v[64:65], off offset:176
	v_add_co_u32 v64, s1, 0x18b0, v67
	v_add_co_ci_u32_e64 v65, s1, 0, v82, s1
	v_add_co_u32 v66, s1, s2, v66
	v_add_co_ci_u32_e64 v67, null, s3, 0, s1
	global_load_dwordx4 v[156:159], v[64:65], off offset:16
	v_add_co_u32 v64, s1, 0x1800, v66
	v_add_co_ci_u32_e64 v65, s1, 0, v67, s1
	global_load_dwordx4 v[152:155], v[64:65], off offset:176
	v_add_co_u32 v64, s1, 0x18b0, v66
	v_add_co_ci_u32_e64 v65, s1, 0, v67, s1
	global_load_dwordx4 v[160:163], v[64:65], off offset:16
	s_waitcnt vmcnt(9) lgkmcnt(4)
	v_mul_f64 v[64:65], v[62:63], v[106:107]
	v_mul_f64 v[66:67], v[60:61], v[106:107]
	s_waitcnt vmcnt(8)
	v_mul_f64 v[114:115], v[58:59], v[118:119]
	v_mul_f64 v[124:125], v[56:57], v[118:119]
	v_fma_f64 v[60:61], v[60:61], v[104:105], -v[64:65]
	s_waitcnt vmcnt(7)
	v_mul_f64 v[64:65], v[54:55], v[122:123]
	v_fma_f64 v[62:63], v[62:63], v[104:105], v[66:67]
	v_mul_f64 v[66:67], v[52:53], v[122:123]
	v_fma_f64 v[56:57], v[56:57], v[116:117], -v[114:115]
	s_waitcnt vmcnt(6)
	v_mul_f64 v[114:115], v[46:47], v[142:143]
	v_fma_f64 v[58:59], v[58:59], v[116:117], v[124:125]
	;; [unrolled: 5-line block ×4, first 2 shown]
	v_mul_f64 v[124:125], v[40:41], v[146:147]
	v_fma_f64 v[64:65], v[36:37], v[128:129], -v[64:65]
	s_waitcnt vmcnt(3) lgkmcnt(2)
	v_mul_f64 v[36:37], v[50:51], v[150:151]
	v_fma_f64 v[66:67], v[38:39], v[128:129], v[66:67]
	v_mul_f64 v[38:39], v[48:49], v[150:151]
	v_fma_f64 v[40:41], v[40:41], v[144:145], -v[114:115]
	s_waitcnt vmcnt(2)
	v_mul_f64 v[114:115], v[34:35], v[158:159]
	v_fma_f64 v[42:43], v[42:43], v[144:145], v[124:125]
	v_mul_f64 v[124:125], v[32:33], v[158:159]
	v_fma_f64 v[48:49], v[48:49], v[148:149], -v[36:37]
	s_waitcnt vmcnt(1) lgkmcnt(1)
	v_mul_f64 v[36:37], v[30:31], v[154:155]
	v_fma_f64 v[50:51], v[50:51], v[148:149], v[38:39]
	v_mul_f64 v[38:39], v[28:29], v[154:155]
	v_fma_f64 v[114:115], v[32:33], v[156:157], -v[114:115]
	v_add_co_u32 v32, s1, 0x177, v83
	v_fma_f64 v[124:125], v[34:35], v[156:157], v[124:125]
	v_add_co_ci_u32_e64 v33, null, 0, 0, s1
	v_add_co_u32 v34, s1, 0xffffffe7, v83
	v_add_co_ci_u32_e64 v35, null, 0, -1, s1
	v_cndmask_b32_e64 v32, v34, v32, s0
	v_cndmask_b32_e64 v33, v35, v33, s0
	v_fma_f64 v[126:127], v[28:29], v[152:153], -v[36:37]
	s_waitcnt vmcnt(0) lgkmcnt(0)
	v_mul_f64 v[28:29], v[24:25], v[162:163]
	v_fma_f64 v[248:249], v[30:31], v[152:153], v[38:39]
	v_mul_f64 v[34:35], v[26:27], v[162:163]
	v_lshlrev_b64 v[30:31], 5, v[32:33]
	v_add_f64 v[36:37], v[54:55], -v[46:47]
	v_add_co_u32 v32, s1, s2, v30
	v_add_co_ci_u32_e64 v33, s1, s3, v31, s1
	s_mov_b32 s2, 0xe8584caa
	v_add_co_u32 v30, s1, 0x1800, v32
	v_add_co_ci_u32_e64 v31, s1, 0, v33, s1
	s_mov_b32 s3, 0x3febb67a
	s_mov_b32 s4, s2
	v_fma_f64 v[252:253], v[26:27], v[160:161], v[28:29]
	global_load_dwordx4 v[26:29], v[30:31], off offset:176
	v_fma_f64 v[250:251], v[24:25], v[160:161], -v[34:35]
	v_add_co_u32 v24, s1, 0x18b0, v32
	v_add_co_ci_u32_e64 v25, s1, 0, v33, s1
	global_load_dwordx4 v[30:33], v[24:25], off offset:16
	s_waitcnt vmcnt(1)
	v_mul_f64 v[24:25], v[242:243], v[28:29]
	v_fma_f64 v[254:255], v[240:241], v[26:27], -v[24:25]
	v_mul_f64 v[24:25], v[240:241], v[28:29]
	buffer_store_dword v26, off, s[20:23], 0 offset:376 ; 4-byte Folded Spill
	buffer_store_dword v27, off, s[20:23], 0 offset:380 ; 4-byte Folded Spill
	;; [unrolled: 1-line block ×4, first 2 shown]
	v_add_f64 v[28:29], v[62:63], -v[58:59]
	v_fma_f64 v[240:241], v[242:243], v[26:27], v[24:25]
	s_waitcnt vmcnt(0)
	v_mul_f64 v[24:25], v[246:247], v[32:33]
	v_fma_f64 v[242:243], v[244:245], v[30:31], -v[24:25]
	v_mul_f64 v[24:25], v[244:245], v[32:33]
	buffer_store_dword v30, off, s[20:23], 0 offset:392 ; 4-byte Folded Spill
	buffer_store_dword v31, off, s[20:23], 0 offset:396 ; 4-byte Folded Spill
	;; [unrolled: 1-line block ×4, first 2 shown]
	v_add_f64 v[32:33], v[60:61], -v[56:57]
	v_fma_f64 v[244:245], v[246:247], v[30:31], v[24:25]
	v_add_f64 v[24:25], v[60:61], v[56:57]
	v_fma_f64 v[26:27], v[24:25], -0.5, v[20:21]
	v_add_f64 v[24:25], v[62:63], v[58:59]
	v_add_f64 v[20:21], v[20:21], v[60:61]
	v_add_f64 v[60:61], v[248:249], -v[252:253]
	v_fma_f64 v[30:31], v[24:25], -0.5, v[22:23]
	v_fma_f64 v[24:25], v[28:29], s[2:3], v[26:27]
	v_fma_f64 v[28:29], v[28:29], s[4:5], v[26:27]
	v_add_f64 v[20:21], v[20:21], v[56:57]
	v_add_f64 v[56:57], v[48:49], -v[114:115]
	v_add_f64 v[22:23], v[22:23], v[62:63]
	v_fma_f64 v[26:27], v[32:33], s[4:5], v[30:31]
	v_fma_f64 v[30:31], v[32:33], s[2:3], v[30:31]
	v_add_f64 v[32:33], v[52:53], v[44:45]
	v_add_f64 v[22:23], v[22:23], v[58:59]
	v_fma_f64 v[34:35], v[32:33], -0.5, v[16:17]
	v_add_f64 v[32:33], v[54:55], v[46:47]
	v_add_f64 v[16:17], v[16:17], v[52:53]
	v_fma_f64 v[38:39], v[32:33], -0.5, v[18:19]
	v_add_f64 v[18:19], v[18:19], v[54:55]
	v_add_f64 v[16:17], v[16:17], v[44:45]
	v_add_f64 v[44:45], v[52:53], -v[44:45]
	v_fma_f64 v[32:33], v[36:37], s[2:3], v[34:35]
	v_fma_f64 v[36:37], v[36:37], s[4:5], v[34:35]
	v_add_f64 v[52:53], v[66:67], -v[42:43]
	v_add_f64 v[54:55], v[64:65], -v[40:41]
	v_add_f64 v[18:19], v[18:19], v[46:47]
	v_add_f64 v[46:47], v[66:67], v[42:43]
	v_fma_f64 v[34:35], v[44:45], s[4:5], v[38:39]
	v_fma_f64 v[38:39], v[44:45], s[2:3], v[38:39]
	v_add_f64 v[44:45], v[64:65], v[40:41]
	v_fma_f64 v[46:47], v[46:47], -0.5, v[14:15]
	v_add_f64 v[14:15], v[14:15], v[66:67]
	v_add_f64 v[66:67], v[240:241], v[244:245]
	v_fma_f64 v[44:45], v[44:45], -0.5, v[12:13]
	v_add_f64 v[12:13], v[12:13], v[64:65]
	v_add_f64 v[64:65], v[126:127], -v[250:251]
	v_add_f64 v[14:15], v[14:15], v[42:43]
	v_fma_f64 v[42:43], v[54:55], s[4:5], v[46:47]
	v_fma_f64 v[46:47], v[54:55], s[2:3], v[46:47]
	v_add_f64 v[12:13], v[12:13], v[40:41]
	v_fma_f64 v[40:41], v[52:53], s[2:3], v[44:45]
	v_fma_f64 v[44:45], v[52:53], s[4:5], v[44:45]
	v_add_f64 v[52:53], v[48:49], v[114:115]
	v_add_f64 v[54:55], v[50:51], v[124:125]
	v_fma_f64 v[66:67], v[66:67], -0.5, v[2:3]
	v_add_f64 v[2:3], v[2:3], v[240:241]
	v_fma_f64 v[52:53], v[52:53], -0.5, v[8:9]
	v_fma_f64 v[54:55], v[54:55], -0.5, v[10:11]
	v_add_f64 v[10:11], v[10:11], v[50:51]
	v_add_f64 v[50:51], v[50:51], -v[124:125]
	v_add_f64 v[8:9], v[8:9], v[48:49]
	v_add_f64 v[10:11], v[10:11], v[124:125]
	v_fma_f64 v[48:49], v[50:51], s[2:3], v[52:53]
	v_fma_f64 v[52:53], v[50:51], s[4:5], v[52:53]
	;; [unrolled: 1-line block ×4, first 2 shown]
	v_add_f64 v[56:57], v[126:127], v[250:251]
	v_add_f64 v[8:9], v[8:9], v[114:115]
	v_add_f64 v[114:115], v[240:241], -v[244:245]
	v_fma_f64 v[58:59], v[56:57], -0.5, v[4:5]
	v_add_f64 v[56:57], v[248:249], v[252:253]
	v_add_f64 v[4:5], v[4:5], v[126:127]
	v_fma_f64 v[62:63], v[56:57], -0.5, v[6:7]
	v_fma_f64 v[56:57], v[60:61], s[2:3], v[58:59]
	v_fma_f64 v[60:61], v[60:61], s[4:5], v[58:59]
	v_add_f64 v[6:7], v[6:7], v[248:249]
	v_add_f64 v[4:5], v[4:5], v[250:251]
	;; [unrolled: 1-line block ×3, first 2 shown]
	v_fma_f64 v[58:59], v[64:65], s[4:5], v[62:63]
	v_fma_f64 v[62:63], v[64:65], s[2:3], v[62:63]
	v_add_f64 v[64:65], v[254:255], v[242:243]
	v_add_f64 v[6:7], v[6:7], v[252:253]
	v_fma_f64 v[64:65], v[64:65], -0.5, v[0:1]
	v_add_f64 v[0:1], v[0:1], v[254:255]
	v_fma_f64 v[240:241], v[114:115], s[2:3], v[64:65]
	v_add_f64 v[248:249], v[0:1], v[242:243]
	v_add_f64 v[0:1], v[254:255], -v[242:243]
	v_fma_f64 v[244:245], v[114:115], s[4:5], v[64:65]
	v_fma_f64 v[242:243], v[0:1], s[4:5], v[66:67]
	;; [unrolled: 1-line block ×3, first 2 shown]
	buffer_load_dword v0, off, s[20:23], 0 offset:4 ; 4-byte Folded Reload
	s_waitcnt vmcnt(0)
	v_lshl_add_u32 v82, v83, 4, v0
	ds_write_b128 v80, v[20:23]
	ds_write_b128 v82, v[24:27] offset:6400
	ds_write_b128 v82, v[28:31] offset:12800
	ds_write_b128 v80, v[16:19] offset:1200
	ds_write_b128 v82, v[32:35] offset:7600
	ds_write_b128 v82, v[36:39] offset:14000
	ds_write_b128 v80, v[12:15] offset:2400
	ds_write_b128 v80, v[40:43] offset:8800
	ds_write_b128 v80, v[44:47] offset:15200
	ds_write_b128 v82, v[8:11] offset:3600
	ds_write_b128 v80, v[48:51] offset:10000
	ds_write_b128 v80, v[52:55] offset:16400
	ds_write_b128 v82, v[4:7] offset:4800
	ds_write_b128 v80, v[56:59] offset:11200
	ds_write_b128 v80, v[60:63] offset:17600
	s_and_saveexec_b32 s1, s0
	s_cbranch_execz .LBB0_15
; %bb.14:
	ds_write_b128 v82, v[248:251] offset:6000
	ds_write_b128 v82, v[240:243] offset:12400
	;; [unrolled: 1-line block ×3, first 2 shown]
.LBB0_15:
	s_or_b32 exec_lo, exec_lo, s1
	v_add_co_u32 v0, s1, 0x4b00, v113
	v_add_co_ci_u32_e64 v1, s1, 0, v112, s1
	v_add_co_u32 v6, s1, 0x4800, v113
	v_add_co_ci_u32_e64 v7, s1, 0, v112, s1
	s_waitcnt lgkmcnt(0)
	s_waitcnt_vscnt null, 0x0
	s_barrier
	buffer_gl0_inv
	ds_read_b128 v[2:5], v80
	buffer_store_dword v6, off, s[20:23], 0 offset:364 ; 4-byte Folded Spill
	buffer_store_dword v7, off, s[20:23], 0 offset:368 ; 4-byte Folded Spill
	v_add_co_u32 v14, s1, 0x5800, v113
	v_add_co_ci_u32_e64 v15, s1, 0, v112, s1
	v_add_co_u32 v16, s1, 0x6800, v113
	v_add_co_ci_u32_e64 v17, s1, 0, v112, s1
	;; [unrolled: 2-line block ×4, first 2 shown]
	global_load_dwordx4 v[6:9], v[6:7], off offset:768
	s_waitcnt vmcnt(0) lgkmcnt(0)
	v_mul_f64 v[10:11], v[4:5], v[8:9]
	v_fma_f64 v[10:11], v[2:3], v[6:7], -v[10:11]
	v_mul_f64 v[2:3], v[2:3], v[8:9]
	v_fma_f64 v[12:13], v[4:5], v[6:7], v[2:3]
	global_load_dwordx4 v[6:9], v[14:15], off offset:512
	ds_read_b128 v[2:5], v80 offset:3840
	ds_write_b128 v80, v[10:13]
	s_waitcnt vmcnt(0) lgkmcnt(1)
	v_mul_f64 v[10:11], v[4:5], v[8:9]
	v_fma_f64 v[10:11], v[2:3], v[6:7], -v[10:11]
	v_mul_f64 v[2:3], v[2:3], v[8:9]
	v_fma_f64 v[12:13], v[4:5], v[6:7], v[2:3]
	global_load_dwordx4 v[6:9], v[16:17], off offset:256
	ds_read_b128 v[2:5], v80 offset:7680
	ds_write_b128 v80, v[10:13] offset:3840
	s_waitcnt vmcnt(0) lgkmcnt(1)
	v_mul_f64 v[10:11], v[4:5], v[8:9]
	v_fma_f64 v[10:11], v[2:3], v[6:7], -v[10:11]
	v_mul_f64 v[2:3], v[2:3], v[8:9]
	v_fma_f64 v[12:13], v[4:5], v[6:7], v[2:3]
	global_load_dwordx4 v[6:9], v[18:19], off
	ds_read_b128 v[2:5], v80 offset:11520
	ds_write_b128 v80, v[10:13] offset:7680
	s_waitcnt vmcnt(0) lgkmcnt(1)
	v_mul_f64 v[10:11], v[4:5], v[8:9]
	v_fma_f64 v[10:11], v[2:3], v[6:7], -v[10:11]
	v_mul_f64 v[2:3], v[2:3], v[8:9]
	v_fma_f64 v[12:13], v[4:5], v[6:7], v[2:3]
	global_load_dwordx4 v[6:9], v[20:21], off offset:1792
	ds_read_b128 v[2:5], v80 offset:15360
	ds_write_b128 v80, v[10:13] offset:11520
	s_waitcnt vmcnt(0) lgkmcnt(1)
	v_mul_f64 v[10:11], v[4:5], v[8:9]
	v_fma_f64 v[10:11], v[2:3], v[6:7], -v[10:11]
	v_mul_f64 v[2:3], v[2:3], v[8:9]
	v_fma_f64 v[12:13], v[4:5], v[6:7], v[2:3]
	global_load_dwordx4 v[6:9], v[0:1], off offset:1200
	ds_read_b128 v[2:5], v80 offset:1200
	ds_write_b128 v80, v[10:13] offset:15360
	s_waitcnt vmcnt(0) lgkmcnt(1)
	v_mul_f64 v[10:11], v[4:5], v[8:9]
	v_fma_f64 v[10:11], v[2:3], v[6:7], -v[10:11]
	v_mul_f64 v[2:3], v[2:3], v[8:9]
	v_fma_f64 v[12:13], v[4:5], v[6:7], v[2:3]
	global_load_dwordx4 v[6:9], v[14:15], off offset:1712
	ds_read_b128 v[2:5], v80 offset:5040
	ds_write_b128 v80, v[10:13] offset:1200
	s_waitcnt vmcnt(0) lgkmcnt(1)
	v_mul_f64 v[10:11], v[4:5], v[8:9]
	v_fma_f64 v[10:11], v[2:3], v[6:7], -v[10:11]
	v_mul_f64 v[2:3], v[2:3], v[8:9]
	v_fma_f64 v[12:13], v[4:5], v[6:7], v[2:3]
	global_load_dwordx4 v[6:9], v[16:17], off offset:1456
	ds_read_b128 v[2:5], v80 offset:8880
	ds_write_b128 v80, v[10:13] offset:5040
	s_waitcnt vmcnt(0) lgkmcnt(1)
	v_mul_f64 v[10:11], v[4:5], v[8:9]
	v_fma_f64 v[10:11], v[2:3], v[6:7], -v[10:11]
	v_mul_f64 v[2:3], v[2:3], v[8:9]
	v_fma_f64 v[12:13], v[4:5], v[6:7], v[2:3]
	global_load_dwordx4 v[6:9], v[18:19], off offset:1200
	ds_read_b128 v[2:5], v80 offset:12720
	ds_write_b128 v80, v[10:13] offset:8880
	s_waitcnt vmcnt(0) lgkmcnt(1)
	v_mul_f64 v[10:11], v[4:5], v[8:9]
	v_fma_f64 v[10:11], v[2:3], v[6:7], -v[10:11]
	v_mul_f64 v[2:3], v[2:3], v[8:9]
	v_fma_f64 v[12:13], v[4:5], v[6:7], v[2:3]
	v_add_co_u32 v6, s1, 0x8800, v113
	v_add_co_ci_u32_e64 v7, s1, 0, v112, s1
	ds_read_b128 v[2:5], v80 offset:16560
	global_load_dwordx4 v[6:9], v[6:7], off offset:944
	ds_write_b128 v80, v[10:13] offset:12720
	s_waitcnt vmcnt(0) lgkmcnt(1)
	v_mul_f64 v[10:11], v[4:5], v[8:9]
	v_fma_f64 v[10:11], v[2:3], v[6:7], -v[10:11]
	v_mul_f64 v[2:3], v[2:3], v[8:9]
	v_fma_f64 v[12:13], v[4:5], v[6:7], v[2:3]
	v_add_co_u32 v6, s1, 0x5000, v113
	v_add_co_ci_u32_e64 v7, s1, 0, v112, s1
	ds_read_b128 v[2:5], v80 offset:2400
	global_load_dwordx4 v[6:9], v[6:7], off offset:1120
	;; [unrolled: 10-line block ×4, first 2 shown]
	ds_write_b128 v80, v[10:13] offset:6240
	s_waitcnt vmcnt(0) lgkmcnt(1)
	v_mul_f64 v[10:11], v[4:5], v[8:9]
	v_fma_f64 v[10:11], v[2:3], v[6:7], -v[10:11]
	v_mul_f64 v[2:3], v[2:3], v[8:9]
	v_fma_f64 v[12:13], v[4:5], v[6:7], v[2:3]
	global_load_dwordx4 v[6:9], v[20:21], off offset:352
	ds_read_b128 v[2:5], v80 offset:13920
	ds_write_b128 v80, v[10:13] offset:10080
	s_waitcnt vmcnt(0) lgkmcnt(1)
	v_mul_f64 v[10:11], v[4:5], v[8:9]
	v_fma_f64 v[10:11], v[2:3], v[6:7], -v[10:11]
	v_mul_f64 v[2:3], v[2:3], v[8:9]
	v_fma_f64 v[12:13], v[4:5], v[6:7], v[2:3]
	v_add_co_u32 v6, s1, 0x9000, v113
	v_add_co_ci_u32_e64 v7, s1, 0, v112, s1
	ds_read_b128 v[2:5], v80 offset:17760
	global_load_dwordx4 v[6:9], v[6:7], off offset:96
	ds_write_b128 v80, v[10:13] offset:13920
	s_waitcnt vmcnt(0) lgkmcnt(1)
	v_mul_f64 v[10:11], v[4:5], v[8:9]
	v_fma_f64 v[10:11], v[2:3], v[6:7], -v[10:11]
	v_mul_f64 v[2:3], v[2:3], v[8:9]
	v_fma_f64 v[12:13], v[4:5], v[6:7], v[2:3]
	ds_write_b128 v80, v[10:13] offset:17760
	s_and_saveexec_b32 s2, vcc_lo
	s_cbranch_execz .LBB0_17
; %bb.16:
	v_add_co_u32 v6, s1, 0x800, v0
	v_add_co_ci_u32_e64 v7, s1, 0, v1, s1
	ds_read_b128 v[2:5], v82 offset:3600
	global_load_dwordx4 v[6:9], v[6:7], off offset:1552
	s_waitcnt vmcnt(0) lgkmcnt(0)
	v_mul_f64 v[10:11], v[4:5], v[8:9]
	v_fma_f64 v[10:11], v[2:3], v[6:7], -v[10:11]
	v_mul_f64 v[2:3], v[2:3], v[8:9]
	v_fma_f64 v[12:13], v[4:5], v[6:7], v[2:3]
	v_add_co_u32 v6, s1, 0x1800, v0
	v_add_co_ci_u32_e64 v7, s1, 0, v1, s1
	global_load_dwordx4 v[6:9], v[6:7], off offset:1296
	ds_write_b128 v82, v[10:13] offset:3600
	ds_read_b128 v[2:5], v80 offset:7440
	s_waitcnt vmcnt(0) lgkmcnt(0)
	v_mul_f64 v[10:11], v[4:5], v[8:9]
	v_fma_f64 v[10:11], v[2:3], v[6:7], -v[10:11]
	v_mul_f64 v[2:3], v[2:3], v[8:9]
	v_fma_f64 v[12:13], v[4:5], v[6:7], v[2:3]
	v_add_co_u32 v6, s1, 0x2800, v0
	v_add_co_ci_u32_e64 v7, s1, 0, v1, s1
	ds_read_b128 v[2:5], v80 offset:11280
	global_load_dwordx4 v[6:9], v[6:7], off offset:1040
	ds_write_b128 v80, v[10:13] offset:7440
	s_waitcnt vmcnt(0) lgkmcnt(1)
	v_mul_f64 v[10:11], v[4:5], v[8:9]
	v_fma_f64 v[10:11], v[2:3], v[6:7], -v[10:11]
	v_mul_f64 v[2:3], v[2:3], v[8:9]
	v_fma_f64 v[12:13], v[4:5], v[6:7], v[2:3]
	v_add_co_u32 v6, s1, 0x3800, v0
	v_add_co_ci_u32_e64 v7, s1, 0, v1, s1
	ds_read_b128 v[2:5], v80 offset:15120
	v_add_co_u32 v0, s1, 0x4800, v0
	global_load_dwordx4 v[6:9], v[6:7], off offset:784
	v_add_co_ci_u32_e64 v1, s1, 0, v1, s1
	ds_write_b128 v80, v[10:13] offset:11280
	s_waitcnt vmcnt(0) lgkmcnt(1)
	v_mul_f64 v[10:11], v[4:5], v[8:9]
	v_fma_f64 v[10:11], v[2:3], v[6:7], -v[10:11]
	v_mul_f64 v[2:3], v[2:3], v[8:9]
	v_fma_f64 v[12:13], v[4:5], v[6:7], v[2:3]
	global_load_dwordx4 v[6:9], v[0:1], off offset:528
	ds_read_b128 v[2:5], v80 offset:18960
	ds_write_b128 v80, v[10:13] offset:15120
	s_waitcnt vmcnt(0) lgkmcnt(1)
	v_mul_f64 v[0:1], v[4:5], v[8:9]
	v_fma_f64 v[0:1], v[2:3], v[6:7], -v[0:1]
	v_mul_f64 v[2:3], v[2:3], v[8:9]
	v_fma_f64 v[2:3], v[4:5], v[6:7], v[2:3]
	ds_write_b128 v80, v[0:3] offset:18960
.LBB0_17:
	s_or_b32 exec_lo, exec_lo, s2
	s_waitcnt lgkmcnt(0)
	s_waitcnt_vscnt null, 0x0
	s_barrier
	buffer_gl0_inv
	ds_read_b128 v[12:15], v80
	ds_read_b128 v[48:51], v80 offset:1200
	ds_read_b128 v[24:27], v80 offset:7680
	;; [unrolled: 1-line block ×14, first 2 shown]
	s_and_saveexec_b32 s1, vcc_lo
	s_cbranch_execz .LBB0_19
; %bb.18:
	ds_read_b128 v[248:251], v82 offset:3600
	ds_read_b128 v[240:243], v82 offset:7440
	;; [unrolled: 1-line block ×5, first 2 shown]
.LBB0_19:
	s_or_b32 exec_lo, exec_lo, s1
	s_waitcnt lgkmcnt(4)
	v_add_f64 v[2:3], v[24:25], v[62:63]
	v_add_f64 v[6:7], v[38:39], -v[30:31]
	s_mov_b32 s14, 0x134454ff
	s_mov_b32 s15, 0xbfee6f0e
	;; [unrolled: 1-line block ×4, first 2 shown]
	v_add_f64 v[10:11], v[26:27], -v[64:65]
	v_add_f64 v[8:9], v[36:37], -v[24:25]
	;; [unrolled: 1-line block ×3, first 2 shown]
	s_mov_b32 s4, 0x4755a5e
	s_mov_b32 s5, 0xbfe2cf23
	;; [unrolled: 1-line block ×6, first 2 shown]
	v_add_f64 v[0:1], v[12:13], v[36:37]
	v_add_f64 v[18:19], v[62:63], -v[28:29]
	s_waitcnt lgkmcnt(2)
	v_add_f64 v[52:53], v[112:113], -v[58:59]
	s_waitcnt lgkmcnt(0)
	s_barrier
	buffer_gl0_inv
	buffer_load_dword v83, off, s[20:23], 0 offset:352 ; 4-byte Folded Reload
	v_fma_f64 v[2:3], v[2:3], -0.5, v[12:13]
	v_add_f64 v[66:67], v[34:35], -v[42:43]
	v_add_f64 v[16:17], v[8:9], v[16:17]
	v_add_f64 v[0:1], v[0:1], v[24:25]
	v_fma_f64 v[4:5], v[6:7], s[14:15], v[2:3]
	v_fma_f64 v[2:3], v[6:7], s[12:13], v[2:3]
	v_add_f64 v[0:1], v[0:1], v[62:63]
	v_fma_f64 v[4:5], v[10:11], s[4:5], v[4:5]
	v_fma_f64 v[2:3], v[10:11], s[16:17], v[2:3]
	;; [unrolled: 3-line block ×3, first 2 shown]
	v_add_f64 v[2:3], v[36:37], v[28:29]
	v_add_f64 v[16:17], v[24:25], -v[36:37]
	v_add_f64 v[28:29], v[36:37], -v[28:29]
	;; [unrolled: 1-line block ×5, first 2 shown]
	v_fma_f64 v[2:3], v[2:3], -0.5, v[12:13]
	v_add_f64 v[18:19], v[16:17], v[18:19]
	v_fma_f64 v[12:13], v[10:11], s[12:13], v[2:3]
	v_fma_f64 v[2:3], v[10:11], s[14:15], v[2:3]
	;; [unrolled: 1-line block ×4, first 2 shown]
	v_add_f64 v[6:7], v[26:27], v[64:65]
	v_fma_f64 v[16:17], v[18:19], s[2:3], v[12:13]
	v_fma_f64 v[12:13], v[18:19], s[2:3], v[2:3]
	v_fma_f64 v[6:7], v[6:7], -0.5, v[14:15]
	v_add_f64 v[18:19], v[38:39], -v[26:27]
	v_add_f64 v[2:3], v[14:15], v[38:39]
	v_fma_f64 v[10:11], v[28:29], s[12:13], v[6:7]
	v_fma_f64 v[6:7], v[28:29], s[14:15], v[6:7]
	v_add_f64 v[18:19], v[18:19], v[36:37]
	v_add_f64 v[2:3], v[2:3], v[26:27]
	v_add_f64 v[26:27], v[26:27], -v[38:39]
	v_add_f64 v[36:37], v[124:125], -v[54:55]
	v_fma_f64 v[10:11], v[24:25], s[16:17], v[10:11]
	v_fma_f64 v[6:7], v[24:25], s[4:5], v[6:7]
	v_add_f64 v[2:3], v[2:3], v[64:65]
	v_add_f64 v[52:53], v[36:37], v[52:53]
	v_fma_f64 v[10:11], v[18:19], s[2:3], v[10:11]
	v_fma_f64 v[6:7], v[18:19], s[2:3], v[6:7]
	v_add_f64 v[18:19], v[38:39], v[30:31]
	v_add_f64 v[2:3], v[2:3], v[30:31]
	v_add_f64 v[30:31], v[64:65], -v[30:31]
	v_add_f64 v[38:39], v[56:57], -v[60:61]
	;; [unrolled: 1-line block ×3, first 2 shown]
	v_fma_f64 v[14:15], v[18:19], -0.5, v[14:15]
	v_add_f64 v[26:27], v[26:27], v[30:31]
	v_add_f64 v[30:31], v[126:127], -v[114:115]
	v_fma_f64 v[18:19], v[24:25], s[14:15], v[14:15]
	v_fma_f64 v[14:15], v[24:25], s[12:13], v[14:15]
	v_add_f64 v[24:25], v[48:49], v[124:125]
	v_fma_f64 v[18:19], v[28:29], s[16:17], v[18:19]
	v_fma_f64 v[14:15], v[28:29], s[4:5], v[14:15]
	v_add_f64 v[24:25], v[24:25], v[54:55]
	;; [unrolled: 3-line block ×3, first 2 shown]
	v_add_f64 v[24:25], v[24:25], v[58:59]
	v_add_f64 v[58:59], v[54:55], -v[58:59]
	s_waitcnt vmcnt(0)
	ds_write_b128 v83, v[0:3]
	ds_write_b128 v83, v[8:11] offset:16
	ds_write_b128 v83, v[16:19] offset:32
	;; [unrolled: 1-line block ×4, first 2 shown]
	buffer_load_dword v0, off, s[20:23], 0 offset:356 ; 4-byte Folded Reload
	v_fma_f64 v[26:27], v[26:27], -0.5, v[48:49]
	v_add_f64 v[24:25], v[24:25], v[112:113]
	v_fma_f64 v[28:29], v[30:31], s[14:15], v[26:27]
	v_fma_f64 v[26:27], v[30:31], s[12:13], v[26:27]
	;; [unrolled: 1-line block ×6, first 2 shown]
	v_add_f64 v[26:27], v[124:125], v[112:113]
	v_add_f64 v[52:53], v[54:55], -v[124:125]
	v_add_f64 v[54:55], v[126:127], -v[56:57]
	v_fma_f64 v[26:27], v[26:27], -0.5, v[48:49]
	v_add_f64 v[62:63], v[52:53], v[62:63]
	v_add_f64 v[54:55], v[54:55], v[64:65]
	v_add_f64 v[64:65], v[20:21], -v[32:33]
	v_fma_f64 v[48:49], v[38:39], s[12:13], v[26:27]
	v_fma_f64 v[26:27], v[38:39], s[14:15], v[26:27]
	;; [unrolled: 1-line block ×4, first 2 shown]
	v_add_f64 v[30:31], v[56:57], v[60:61]
	v_fma_f64 v[52:53], v[62:63], s[2:3], v[48:49]
	v_fma_f64 v[48:49], v[62:63], s[2:3], v[26:27]
	v_fma_f64 v[30:31], v[30:31], -0.5, v[50:51]
	v_add_f64 v[62:63], v[124:125], -v[112:113]
	v_add_f64 v[26:27], v[50:51], v[126:127]
	v_add_f64 v[112:113], v[44:45], -v[40:41]
	v_fma_f64 v[38:39], v[62:63], s[12:13], v[30:31]
	v_fma_f64 v[30:31], v[62:63], s[14:15], v[30:31]
	v_add_f64 v[26:27], v[26:27], v[56:57]
	v_add_f64 v[56:57], v[56:57], -v[126:127]
	v_add_f64 v[64:65], v[64:65], v[112:113]
	v_fma_f64 v[38:39], v[58:59], s[16:17], v[38:39]
	v_fma_f64 v[30:31], v[58:59], s[4:5], v[30:31]
	v_add_f64 v[26:27], v[26:27], v[60:61]
	v_add_f64 v[60:61], v[60:61], -v[114:115]
	v_fma_f64 v[38:39], v[54:55], s[2:3], v[38:39]
	v_fma_f64 v[30:31], v[54:55], s[2:3], v[30:31]
	v_add_f64 v[54:55], v[126:127], v[114:115]
	v_add_f64 v[56:57], v[56:57], v[60:61]
	v_add_f64 v[60:61], v[22:23], -v[46:47]
	v_add_f64 v[26:27], v[26:27], v[114:115]
	v_add_f64 v[114:115], v[40:41], -v[44:45]
	v_fma_f64 v[50:51], v[54:55], -0.5, v[50:51]
	v_fma_f64 v[54:55], v[58:59], s[14:15], v[50:51]
	v_fma_f64 v[50:51], v[58:59], s[12:13], v[50:51]
	v_add_f64 v[58:59], v[32:33], v[40:41]
	v_fma_f64 v[54:55], v[62:63], s[16:17], v[54:55]
	v_fma_f64 v[50:51], v[62:63], s[4:5], v[50:51]
	v_fma_f64 v[58:59], v[58:59], -0.5, v[252:253]
	v_fma_f64 v[54:55], v[56:57], s[2:3], v[54:55]
	v_fma_f64 v[50:51], v[56:57], s[2:3], v[50:51]
	;; [unrolled: 1-line block ×4, first 2 shown]
	v_add_f64 v[56:57], v[252:253], v[20:21]
	s_waitcnt vmcnt(0)
	ds_write_b128 v0, v[24:27]
	ds_write_b128 v0, v[36:39] offset:16
	ds_write_b128 v0, v[52:55] offset:32
	;; [unrolled: 1-line block ×4, first 2 shown]
	buffer_load_dword v0, off, s[20:23], 0 offset:360 ; 4-byte Folded Reload
	v_fma_f64 v[62:63], v[66:67], s[4:5], v[62:63]
	v_fma_f64 v[58:59], v[66:67], s[16:17], v[58:59]
	v_add_f64 v[56:57], v[56:57], v[32:33]
	v_fma_f64 v[124:125], v[64:65], s[2:3], v[62:63]
	v_fma_f64 v[112:113], v[64:65], s[2:3], v[58:59]
	v_add_f64 v[58:59], v[20:21], v[44:45]
	v_add_f64 v[64:65], v[32:33], -v[20:21]
	v_add_f64 v[56:57], v[56:57], v[40:41]
	v_add_f64 v[20:21], v[20:21], -v[44:45]
	v_add_f64 v[32:33], v[32:33], -v[40:41]
	v_fma_f64 v[58:59], v[58:59], -0.5, v[252:253]
	v_add_f64 v[114:115], v[64:65], v[114:115]
	v_add_f64 v[56:57], v[56:57], v[44:45]
	v_fma_f64 v[62:63], v[66:67], s[12:13], v[58:59]
	v_fma_f64 v[58:59], v[66:67], s[14:15], v[58:59]
	v_add_f64 v[66:67], v[46:47], -v[42:43]
	v_fma_f64 v[62:63], v[60:61], s[4:5], v[62:63]
	v_fma_f64 v[58:59], v[60:61], s[16:17], v[58:59]
	;; [unrolled: 1-line block ×3, first 2 shown]
	v_add_f64 v[62:63], v[34:35], v[42:43]
	v_fma_f64 v[60:61], v[114:115], s[2:3], v[58:59]
	v_add_f64 v[58:59], v[254:255], v[22:23]
	v_fma_f64 v[62:63], v[62:63], -0.5, v[254:255]
	v_add_f64 v[58:59], v[58:59], v[34:35]
	v_fma_f64 v[44:45], v[20:21], s[12:13], v[62:63]
	v_add_f64 v[58:59], v[58:59], v[42:43]
	v_fma_f64 v[40:41], v[32:33], s[16:17], v[44:45]
	v_add_f64 v[44:45], v[22:23], -v[34:35]
	v_add_f64 v[58:59], v[58:59], v[46:47]
	v_add_f64 v[44:45], v[44:45], v[66:67]
	v_fma_f64 v[126:127], v[44:45], s[2:3], v[40:41]
	v_fma_f64 v[40:41], v[20:21], s[14:15], v[62:63]
	;; [unrolled: 1-line block ×4, first 2 shown]
	v_add_f64 v[40:41], v[22:23], v[46:47]
	v_add_f64 v[22:23], v[34:35], -v[22:23]
	v_add_f64 v[34:35], v[42:43], -v[46:47]
	;; [unrolled: 1-line block ×4, first 2 shown]
	v_fma_f64 v[40:41], v[40:41], -0.5, v[254:255]
	v_add_f64 v[22:23], v[22:23], v[34:35]
	v_add_f64 v[34:35], v[246:247], -v[238:239]
	v_fma_f64 v[44:45], v[32:33], s[14:15], v[40:41]
	v_fma_f64 v[32:33], v[32:33], s[12:13], v[40:41]
	v_add_f64 v[40:41], v[240:241], -v[244:245]
	v_fma_f64 v[44:45], v[20:21], s[16:17], v[44:45]
	v_fma_f64 v[20:21], v[20:21], s[4:5], v[32:33]
	v_add_f64 v[40:41], v[40:41], v[42:43]
	v_fma_f64 v[66:67], v[22:23], s[2:3], v[44:45]
	v_fma_f64 v[62:63], v[22:23], s[2:3], v[20:21]
	v_add_f64 v[20:21], v[248:249], v[240:241]
	v_add_f64 v[22:23], v[242:243], -v[234:235]
	v_add_f64 v[44:45], v[244:245], -v[240:241]
	s_waitcnt vmcnt(0)
	ds_write_b128 v0, v[56:59]
	ds_write_b128 v0, v[124:127] offset:16
	ds_write_b128 v0, v[64:67] offset:32
	;; [unrolled: 1-line block ×4, first 2 shown]
	v_add_f64 v[20:21], v[20:21], v[244:245]
	v_add_f64 v[46:47], v[44:45], v[46:47]
	;; [unrolled: 1-line block ×5, first 2 shown]
	v_fma_f64 v[20:21], v[20:21], -0.5, v[248:249]
	v_fma_f64 v[32:33], v[22:23], s[14:15], v[20:21]
	v_fma_f64 v[20:21], v[22:23], s[12:13], v[20:21]
	;; [unrolled: 1-line block ×6, first 2 shown]
	v_add_f64 v[40:41], v[240:241], v[232:233]
	v_fma_f64 v[40:41], v[40:41], -0.5, v[248:249]
	v_fma_f64 v[42:43], v[34:35], s[12:13], v[40:41]
	v_fma_f64 v[34:35], v[34:35], s[14:15], v[40:41]
	;; [unrolled: 1-line block ×6, first 2 shown]
	v_add_f64 v[22:23], v[250:251], v[242:243]
	v_add_f64 v[42:43], v[240:241], -v[232:233]
	v_add_f64 v[232:233], v[244:245], -v[236:237]
	;; [unrolled: 1-line block ×5, first 2 shown]
	v_add_f64 v[22:23], v[22:23], v[246:247]
	v_add_f64 v[46:47], v[46:47], v[236:237]
	;; [unrolled: 1-line block ×5, first 2 shown]
	v_fma_f64 v[22:23], v[22:23], -0.5, v[250:251]
	v_fma_f64 v[34:35], v[42:43], s[12:13], v[22:23]
	v_fma_f64 v[22:23], v[42:43], s[14:15], v[22:23]
	;; [unrolled: 1-line block ×6, first 2 shown]
	v_add_f64 v[46:47], v[242:243], v[234:235]
	v_add_f64 v[234:235], v[238:239], -v[234:235]
	v_fma_f64 v[236:237], v[46:47], -0.5, v[250:251]
	v_add_f64 v[234:235], v[240:241], v[234:235]
	v_fma_f64 v[46:47], v[232:233], s[14:15], v[236:237]
	v_fma_f64 v[232:233], v[232:233], s[12:13], v[236:237]
	;; [unrolled: 1-line block ×6, first 2 shown]
	s_and_saveexec_b32 s1, vcc_lo
	s_cbranch_execz .LBB0_21
; %bb.20:
	s_clause 0x1
	buffer_load_dword v0, off, s[20:23], 0 offset:4
	buffer_load_dword v1, off, s[20:23], 0 offset:372
	s_waitcnt vmcnt(0)
	v_lshl_add_u32 v0, v1, 4, v0
	ds_write_b128 v0, v[252:255]
	ds_write_b128 v0, v[32:35] offset:16
	ds_write_b128 v0, v[44:47] offset:32
	;; [unrolled: 1-line block ×4, first 2 shown]
.LBB0_21:
	s_or_b32 exec_lo, exec_lo, s1
	s_waitcnt lgkmcnt(0)
	s_barrier
	buffer_gl0_inv
	ds_read_b128 v[8:11], v80
	ds_read_b128 v[4:7], v80 offset:1200
	ds_read_b128 v[64:67], v80 offset:7680
	;; [unrolled: 1-line block ×14, first 2 shown]
	s_and_saveexec_b32 s1, vcc_lo
	s_cbranch_execz .LBB0_23
; %bb.22:
	ds_read_b128 v[252:255], v80 offset:3600
	ds_read_b128 v[32:35], v80 offset:7440
	;; [unrolled: 1-line block ×5, first 2 shown]
.LBB0_23:
	s_or_b32 exec_lo, exec_lo, s1
	s_waitcnt lgkmcnt(8)
	v_mul_f64 v[232:233], v[170:171], v[126:127]
	s_waitcnt lgkmcnt(0)
	s_barrier
	buffer_gl0_inv
	buffer_load_dword v83, off, s[20:23], 0 offset:340 ; 4-byte Folded Reload
	s_mov_b32 s5, 0x3fee6f0e
	s_mov_b32 s4, s14
	;; [unrolled: 1-line block ×8, first 2 shown]
	v_fma_f64 v[232:233], v[168:169], v[124:125], v[232:233]
	v_mul_f64 v[124:125], v[170:171], v[124:125]
	v_fma_f64 v[234:235], v[168:169], v[126:127], -v[124:125]
	v_mul_f64 v[124:125], v[198:199], v[66:67]
	v_fma_f64 v[236:237], v[196:197], v[64:65], v[124:125]
	v_mul_f64 v[64:65], v[198:199], v[64:65]
	v_fma_f64 v[198:199], v[196:197], v[66:67], -v[64:65]
	v_mul_f64 v[64:65], v[218:219], v[114:115]
	v_fma_f64 v[238:239], v[216:217], v[112:113], v[64:65]
	v_mul_f64 v[64:65], v[218:219], v[112:113]
	v_mul_f64 v[112:113], v[190:191], v[12:13]
	v_fma_f64 v[196:197], v[216:217], v[114:115], -v[64:65]
	v_mul_f64 v[64:65], v[210:211], v[62:63]
	v_fma_f64 v[112:113], v[188:189], v[14:15], -v[112:113]
	v_fma_f64 v[170:171], v[208:209], v[60:61], v[64:65]
	v_mul_f64 v[60:61], v[210:211], v[60:61]
	v_mul_f64 v[64:65], v[214:215], v[24:25]
	v_fma_f64 v[168:169], v[208:209], v[62:63], -v[60:61]
	v_mul_f64 v[60:61], v[206:207], v[58:59]
	v_fma_f64 v[114:115], v[204:205], v[56:57], v[60:61]
	v_mul_f64 v[56:57], v[206:207], v[56:57]
	v_fma_f64 v[56:57], v[204:205], v[58:59], -v[56:57]
	v_mul_f64 v[58:59], v[202:203], v[50:51]
	v_fma_f64 v[124:125], v[200:201], v[48:49], v[58:59]
	v_mul_f64 v[48:49], v[202:203], v[48:49]
	v_fma_f64 v[58:59], v[200:201], v[50:51], -v[48:49]
	v_mul_f64 v[48:49], v[222:223], v[54:55]
	v_mul_f64 v[50:51], v[230:231], v[36:37]
	v_fma_f64 v[126:127], v[220:221], v[52:53], v[48:49]
	v_mul_f64 v[48:49], v[222:223], v[52:53]
	v_fma_f64 v[60:61], v[228:229], v[38:39], -v[50:51]
	v_fma_f64 v[52:53], v[220:221], v[54:55], -v[48:49]
	v_mul_f64 v[48:49], v[230:231], v[38:39]
	v_mul_f64 v[38:39], v[226:227], v[28:29]
	v_add_f64 v[208:209], v[56:57], -v[60:61]
	v_fma_f64 v[62:63], v[228:229], v[36:37], v[48:49]
	v_mul_f64 v[36:37], v[226:227], v[30:31]
	v_mul_f64 v[48:49], v[214:215], v[26:27]
	v_add_f64 v[204:205], v[114:115], v[62:63]
	v_fma_f64 v[50:51], v[224:225], v[28:29], v[36:37]
	v_fma_f64 v[36:37], v[224:225], v[30:31], -v[38:39]
	v_mul_f64 v[30:31], v[194:195], v[16:17]
	v_mul_f64 v[38:39], v[190:191], v[14:15]
	;; [unrolled: 1-line block ×3, first 2 shown]
	v_fma_f64 v[54:55], v[212:213], v[24:25], v[48:49]
	v_mul_f64 v[24:25], v[186:187], v[34:35]
	v_fma_f64 v[48:49], v[212:213], v[26:27], -v[64:65]
	v_mul_f64 v[26:27], v[186:187], v[32:33]
	v_add_f64 v[186:187], v[236:237], v[238:239]
	v_mul_f64 v[14:15], v[178:179], v[40:41]
	v_add_f64 v[190:191], v[198:199], -v[196:197]
	v_fma_f64 v[64:65], v[192:193], v[18:19], -v[30:31]
	v_mul_f64 v[18:19], v[182:183], v[46:47]
	v_fma_f64 v[38:39], v[188:189], v[12:13], v[38:39]
	v_add_f64 v[12:13], v[198:199], v[196:197]
	v_fma_f64 v[66:67], v[192:193], v[16:17], v[28:29]
	v_add_f64 v[16:17], v[232:233], v[170:171]
	v_mul_f64 v[28:29], v[182:183], v[44:45]
	v_add_f64 v[188:189], v[8:9], v[232:233]
	v_fma_f64 v[24:25], v[184:185], v[32:33], v[24:25]
	v_add_f64 v[32:33], v[234:235], v[168:169]
	v_fma_f64 v[30:31], v[184:185], v[34:35], -v[26:27]
	v_add_f64 v[34:35], v[10:11], v[234:235]
	v_add_f64 v[184:185], v[234:235], -v[168:169]
	v_fma_f64 v[186:187], v[186:187], -0.5, v[8:9]
	v_mul_f64 v[182:183], v[178:179], v[42:43]
	v_add_f64 v[192:193], v[236:237], -v[238:239]
	v_mul_f64 v[178:179], v[166:167], v[22:23]
	v_mul_f64 v[166:167], v[166:167], v[20:21]
	v_fma_f64 v[26:27], v[180:181], v[44:45], v[18:19]
	v_add_f64 v[18:19], v[232:233], -v[170:171]
	v_fma_f64 v[12:13], v[12:13], -0.5, v[10:11]
	v_add_f64 v[44:45], v[170:171], -v[238:239]
	v_fma_f64 v[8:9], v[16:17], -0.5, v[8:9]
	v_fma_f64 v[28:29], v[180:181], v[46:47], -v[28:29]
	v_add_f64 v[46:47], v[236:237], -v[232:233]
	v_add_f64 v[180:181], v[238:239], -v[170:171]
	v_add_f64 v[188:189], v[188:189], v[236:237]
	v_fma_f64 v[10:11], v[32:33], -0.5, v[10:11]
	v_add_f64 v[16:17], v[232:233], -v[236:237]
	v_add_f64 v[194:195], v[34:35], v[198:199]
	v_fma_f64 v[200:201], v[184:185], s[14:15], v[186:187]
	v_fma_f64 v[186:187], v[184:185], s[4:5], v[186:187]
	v_fma_f64 v[34:35], v[176:177], v[42:43], -v[14:15]
	v_add_f64 v[14:15], v[234:235], -v[198:199]
	v_add_f64 v[42:43], v[168:169], -v[196:197]
	v_fma_f64 v[32:33], v[176:177], v[40:41], v[182:183]
	v_add_f64 v[176:177], v[198:199], -v[234:235]
	v_add_f64 v[182:183], v[196:197], -v[168:169]
	v_add_f64 v[198:199], v[4:5], v[114:115]
	v_fma_f64 v[202:203], v[18:19], s[4:5], v[12:13]
	v_fma_f64 v[12:13], v[18:19], s[14:15], v[12:13]
	;; [unrolled: 1-line block ×4, first 2 shown]
	v_add_f64 v[46:47], v[46:47], v[180:181]
	v_add_f64 v[180:181], v[188:189], v[238:239]
	v_fma_f64 v[188:189], v[192:193], s[14:15], v[10:11]
	v_add_f64 v[44:45], v[16:17], v[44:45]
	v_add_f64 v[16:17], v[124:125], v[126:127]
	;; [unrolled: 1-line block ×3, first 2 shown]
	v_fma_f64 v[8:9], v[190:191], s[12:13], v[200:201]
	v_fma_f64 v[186:187], v[190:191], s[2:3], v[186:187]
	;; [unrolled: 1-line block ×3, first 2 shown]
	v_add_f64 v[14:15], v[14:15], v[42:43]
	v_fma_f64 v[42:43], v[164:165], v[22:23], -v[166:167]
	v_add_f64 v[166:167], v[114:115], -v[62:63]
	v_add_f64 v[176:177], v[176:177], v[182:183]
	v_add_f64 v[196:197], v[6:7], v[56:57]
	;; [unrolled: 1-line block ×3, first 2 shown]
	v_fma_f64 v[202:203], v[192:193], s[2:3], v[202:203]
	v_fma_f64 v[200:201], v[184:185], s[12:13], v[40:41]
	;; [unrolled: 1-line block ×4, first 2 shown]
	v_add_f64 v[164:165], v[58:59], -v[52:53]
	v_add_f64 v[20:21], v[180:181], v[170:171]
	v_fma_f64 v[182:183], v[18:19], s[2:3], v[188:189]
	v_add_f64 v[188:189], v[198:199], v[124:125]
	v_fma_f64 v[210:211], v[16:17], -0.5, v[4:5]
	v_add_f64 v[22:23], v[194:195], v[168:169]
	v_fma_f64 v[16:17], v[44:45], s[16:17], v[8:9]
	v_fma_f64 v[8:9], v[44:45], s[16:17], v[186:187]
	v_fma_f64 v[44:45], v[184:185], s[2:3], v[206:207]
	v_fma_f64 v[168:169], v[18:19], s[12:13], v[10:11]
	v_add_f64 v[186:187], v[114:115], -v[124:125]
	v_add_f64 v[194:195], v[62:63], -v[126:127]
	;; [unrolled: 1-line block ×4, first 2 shown]
	v_add_f64 v[170:171], v[56:57], v[60:61]
	v_fma_f64 v[4:5], v[204:205], -0.5, v[4:5]
	v_add_f64 v[192:193], v[196:197], v[58:59]
	v_fma_f64 v[18:19], v[14:15], s[16:17], v[202:203]
	v_add_f64 v[202:203], v[124:125], -v[126:127]
	v_fma_f64 v[12:13], v[46:47], s[16:17], v[200:201]
	v_fma_f64 v[190:191], v[190:191], -0.5, v[6:7]
	v_fma_f64 v[10:11], v[14:15], s[16:17], v[178:179]
	v_add_f64 v[180:181], v[54:55], v[66:67]
	v_add_f64 v[204:205], v[56:57], -v[58:59]
	v_fma_f64 v[14:15], v[176:177], s[16:17], v[182:183]
	v_add_f64 v[178:179], v[188:189], v[126:127]
	v_fma_f64 v[184:185], v[208:209], s[14:15], v[210:211]
	v_fma_f64 v[188:189], v[208:209], s[4:5], v[210:211]
	v_add_f64 v[206:207], v[60:61], -v[52:53]
	v_add_f64 v[56:57], v[58:59], -v[56:57]
	v_fma_f64 v[124:125], v[46:47], s[16:17], v[44:45]
	v_fma_f64 v[126:127], v[176:177], s[16:17], v[168:169]
	s_waitcnt vmcnt(0)
	ds_write_b128 v83, v[20:23]
	ds_write_b128 v83, v[16:19] offset:80
	ds_write_b128 v83, v[12:15] offset:160
	;; [unrolled: 1-line block ×4, first 2 shown]
	buffer_load_dword v8, off, s[20:23], 0 offset:348 ; 4-byte Folded Reload
	v_fma_f64 v[6:7], v[170:171], -0.5, v[6:7]
	v_fma_f64 v[196:197], v[164:165], s[4:5], v[4:5]
	v_add_f64 v[192:193], v[192:193], v[52:53]
	v_fma_f64 v[200:201], v[166:167], s[4:5], v[190:191]
	v_fma_f64 v[4:5], v[164:165], s[14:15], v[4:5]
	v_add_f64 v[44:45], v[0:1], v[50:51]
	v_fma_f64 v[46:47], v[180:181], -0.5, v[0:1]
	v_fma_f64 v[170:171], v[164:165], s[12:13], v[184:185]
	v_add_f64 v[180:181], v[186:187], v[194:195]
	v_fma_f64 v[184:185], v[166:167], s[14:15], v[190:191]
	v_add_f64 v[186:187], v[50:51], v[38:39]
	v_add_f64 v[190:191], v[2:3], v[36:37]
	v_fma_f64 v[164:165], v[164:165], s[2:3], v[188:189]
	v_add_f64 v[52:53], v[52:53], -v[60:61]
	v_add_f64 v[182:183], v[48:49], v[64:65]
	v_add_f64 v[176:177], v[178:179], v[62:63]
	;; [unrolled: 1-line block ×4, first 2 shown]
	v_add_f64 v[194:195], v[50:51], -v[38:39]
	v_add_f64 v[168:169], v[36:37], -v[112:113]
	v_add_f64 v[210:211], v[26:27], v[32:33]
	v_fma_f64 v[58:59], v[202:203], s[14:15], v[6:7]
	v_fma_f64 v[6:7], v[202:203], s[4:5], v[6:7]
	;; [unrolled: 1-line block ×3, first 2 shown]
	v_add_f64 v[178:179], v[192:193], v[60:61]
	v_fma_f64 v[192:193], v[202:203], s[2:3], v[200:201]
	v_add_f64 v[196:197], v[204:205], v[206:207]
	v_add_f64 v[44:45], v[44:45], v[54:55]
	v_fma_f64 v[4:5], v[208:209], s[2:3], v[4:5]
	v_add_f64 v[204:205], v[50:51], -v[54:55]
	v_add_f64 v[206:207], v[38:39], -v[66:67]
	v_fma_f64 v[0:1], v[186:187], -0.5, v[0:1]
	v_add_f64 v[186:187], v[190:191], v[48:49]
	v_fma_f64 v[60:61], v[180:181], s[16:17], v[164:165]
	v_add_f64 v[52:53], v[56:57], v[52:53]
	v_fma_f64 v[182:183], v[182:183], -0.5, v[2:3]
	v_fma_f64 v[184:185], v[202:203], s[12:13], v[184:185]
	v_fma_f64 v[56:57], v[180:181], s[16:17], v[170:171]
	v_add_f64 v[200:201], v[48:49], -v[64:65]
	v_add_f64 v[202:203], v[54:55], -v[66:67]
	v_fma_f64 v[2:3], v[188:189], -0.5, v[2:3]
	v_add_f64 v[188:189], v[36:37], -v[48:49]
	v_add_f64 v[208:209], v[112:113], -v[64:65]
	v_fma_f64 v[164:165], v[166:167], s[2:3], v[58:59]
	v_fma_f64 v[6:7], v[166:167], s[12:13], v[6:7]
	v_add_f64 v[50:51], v[54:55], -v[50:51]
	v_add_f64 v[54:55], v[66:67], -v[38:39]
	;; [unrolled: 1-line block ×3, first 2 shown]
	v_fma_f64 v[58:59], v[196:197], s[16:17], v[192:193]
	v_add_f64 v[44:45], v[44:45], v[66:67]
	v_add_f64 v[48:49], v[64:65], -v[112:113]
	v_fma_f64 v[180:181], v[114:115], s[16:17], v[4:5]
	v_add_f64 v[170:171], v[204:205], v[206:207]
	v_fma_f64 v[198:199], v[168:169], s[14:15], v[46:47]
	v_add_f64 v[186:187], v[186:187], v[64:65]
	v_fma_f64 v[64:65], v[114:115], s[16:17], v[62:63]
	v_fma_f64 v[46:47], v[168:169], s[4:5], v[46:47]
	;; [unrolled: 1-line block ×5, first 2 shown]
	v_add_f64 v[114:115], v[24:25], v[40:41]
	v_add_f64 v[4:5], v[30:31], -v[42:43]
	v_add_f64 v[204:205], v[188:189], v[208:209]
	v_fma_f64 v[66:67], v[52:53], s[16:17], v[164:165]
	v_fma_f64 v[182:183], v[52:53], s[16:17], v[6:7]
	;; [unrolled: 1-line block ×4, first 2 shown]
	v_add_f64 v[52:53], v[28:29], v[34:35]
	v_add_f64 v[196:197], v[50:51], v[54:55]
	;; [unrolled: 1-line block ×3, first 2 shown]
	v_add_f64 v[6:7], v[28:29], -v[34:35]
	v_add_f64 v[50:51], v[40:41], -v[32:33]
	;; [unrolled: 1-line block ×3, first 2 shown]
	v_fma_f64 v[166:167], v[200:201], s[12:13], v[198:199]
	v_fma_f64 v[198:199], v[200:201], s[4:5], v[0:1]
	;; [unrolled: 1-line block ×4, first 2 shown]
	v_add_f64 v[46:47], v[30:31], v[42:43]
	v_fma_f64 v[190:191], v[202:203], s[2:3], v[190:191]
	v_add_f64 v[186:187], v[186:187], v[112:113]
	v_fma_f64 v[192:193], v[202:203], s[12:13], v[206:207]
	v_add_f64 v[200:201], v[36:37], v[48:49]
	v_add_f64 v[48:49], v[24:25], -v[26:27]
	v_add_f64 v[112:113], v[32:33], -v[40:41]
	;; [unrolled: 1-line block ×5, first 2 shown]
	s_waitcnt vmcnt(0)
	ds_write_b128 v8, v[176:179]
	ds_write_b128 v8, v[56:59] offset:80
	ds_write_b128 v8, v[64:67] offset:160
	;; [unrolled: 1-line block ×4, first 2 shown]
	buffer_load_dword v8, off, s[20:23], 0 offset:344 ; 4-byte Folded Reload
	v_fma_f64 v[188:189], v[170:171], s[16:17], v[166:167]
	v_fma_f64 v[166:167], v[168:169], s[12:13], v[198:199]
	;; [unrolled: 1-line block ×5, first 2 shown]
	v_fma_f64 v[0:1], v[210:211], -0.5, v[252:253]
	v_fma_f64 v[2:3], v[114:115], -0.5, v[252:253]
	;; [unrolled: 1-line block ×3, first 2 shown]
	v_add_f64 v[114:115], v[30:31], -v[28:29]
	v_add_f64 v[194:195], v[42:43], -v[34:35]
	v_fma_f64 v[52:53], v[46:47], -0.5, v[254:255]
	v_add_f64 v[208:209], v[34:35], -v[42:43]
	v_add_f64 v[46:47], v[48:49], v[50:51]
	v_add_f64 v[48:49], v[54:55], v[112:113]
	v_fma_f64 v[190:191], v[204:205], s[16:17], v[190:191]
	v_fma_f64 v[210:211], v[4:5], s[14:15], v[0:1]
	;; [unrolled: 1-line block ×3, first 2 shown]
	v_add_f64 v[50:51], v[114:115], v[194:195]
	v_fma_f64 v[114:115], v[38:39], s[4:5], v[36:37]
	v_fma_f64 v[194:195], v[44:45], s[14:15], v[52:53]
	v_add_f64 v[54:55], v[206:207], v[208:209]
	v_fma_f64 v[206:207], v[6:7], s[12:13], v[210:211]
	v_fma_f64 v[208:209], v[4:5], s[12:13], v[112:113]
	;; [unrolled: 1-line block ×10, first 2 shown]
	s_waitcnt vmcnt(0)
	ds_write_b128 v8, v[184:187]
	ds_write_b128 v8, v[188:191] offset:80
	ds_write_b128 v8, v[192:195] offset:160
	;; [unrolled: 1-line block ×4, first 2 shown]
	v_fma_f64 v[164:165], v[46:47], s[16:17], v[206:207]
	v_fma_f64 v[168:169], v[48:49], s[16:17], v[208:209]
	;; [unrolled: 1-line block ×4, first 2 shown]
	s_and_saveexec_b32 s1, vcc_lo
	s_cbranch_execz .LBB0_25
; %bb.24:
	v_mul_f64 v[10:11], v[38:39], s[4:5]
	v_add_f64 v[12:13], v[254:255], v[30:31]
	v_mul_f64 v[18:19], v[4:5], s[4:5]
	v_mul_f64 v[20:21], v[44:45], s[2:3]
	v_add_f64 v[14:15], v[252:253], v[24:25]
	v_mul_f64 v[16:17], v[6:7], s[4:5]
	v_mul_f64 v[6:7], v[6:7], s[2:3]
	;; [unrolled: 1-line block ×6, first 2 shown]
	v_add_f64 v[10:11], v[36:37], -v[10:11]
	v_add_f64 v[12:13], v[12:13], v[28:29]
	v_add_f64 v[0:1], v[0:1], v[18:19]
	v_mul_f64 v[18:19], v[48:49], s[16:17]
	v_add_f64 v[14:15], v[14:15], v[26:27]
	v_add_f64 v[2:3], v[2:3], -v[16:17]
	v_mul_f64 v[26:27], v[54:55], s[16:17]
	v_mul_f64 v[16:17], v[46:47], s[16:17]
	v_add_f64 v[8:9], v[8:9], v[52:53]
	v_add_f64 v[10:11], v[10:11], -v[20:21]
	v_add_f64 v[12:13], v[12:13], v[34:35]
	v_add_f64 v[20:21], v[6:7], v[0:1]
	;; [unrolled: 1-line block ×4, first 2 shown]
	v_add_f64 v[8:9], v[8:9], -v[22:23]
	v_add_f64 v[6:7], v[24:25], v[10:11]
	v_add_f64 v[10:11], v[12:13], v[42:43]
	s_clause 0x1
	buffer_load_dword v12, off, s[20:23], 0 offset:336
	buffer_load_dword v13, off, s[20:23], 0 offset:4
	v_add_f64 v[0:1], v[18:19], v[4:5]
	v_add_f64 v[4:5], v[16:17], v[20:21]
	;; [unrolled: 1-line block ×4, first 2 shown]
	s_waitcnt vmcnt(1)
	v_and_b32_e32 v12, 0xffff, v12
	s_waitcnt vmcnt(0)
	v_lshl_add_u32 v12, v12, 4, v13
	ds_write_b128 v12, v[164:167] offset:80
	ds_write_b128 v12, v[168:171] offset:160
	ds_write_b128 v12, v[8:11]
	ds_write_b128 v12, v[0:3] offset:240
	ds_write_b128 v12, v[4:7] offset:320
.LBB0_25:
	s_or_b32 exec_lo, exec_lo, s1
	s_waitcnt lgkmcnt(0)
	s_barrier
	buffer_gl0_inv
	ds_read_b128 v[0:3], v80 offset:1200
	ds_read_b128 v[4:7], v80 offset:2400
	;; [unrolled: 1-line block ×8, first 2 shown]
	s_mov_b32 s2, 0x667f3bcd
	s_mov_b32 s3, 0xbfe6a09e
	;; [unrolled: 1-line block ×12, first 2 shown]
	s_waitcnt lgkmcnt(7)
	v_mul_f64 v[32:33], v[90:91], v[2:3]
	v_mul_f64 v[34:35], v[90:91], v[0:1]
	s_waitcnt lgkmcnt(6)
	v_mul_f64 v[36:37], v[86:87], v[6:7]
	v_mul_f64 v[38:39], v[86:87], v[4:5]
	;; [unrolled: 3-line block ×7, first 2 shown]
	v_fma_f64 v[52:53], v[88:89], v[0:1], v[32:33]
	v_fma_f64 v[54:55], v[88:89], v[2:3], -v[34:35]
	ds_read_b128 v[0:3], v80 offset:16800
	v_fma_f64 v[36:37], v[84:85], v[4:5], v[36:37]
	v_fma_f64 v[38:39], v[84:85], v[6:7], -v[38:39]
	ds_read_b128 v[4:7], v80 offset:3600
	ds_read_b128 v[32:35], v80 offset:10800
	v_fma_f64 v[40:41], v[68:69], v[8:9], v[40:41]
	v_fma_f64 v[42:43], v[68:69], v[10:11], -v[42:43]
	ds_read_b128 v[8:11], v80 offset:13200
	v_fma_f64 v[44:45], v[100:101], v[12:13], v[44:45]
	v_fma_f64 v[46:47], v[100:101], v[14:15], -v[46:47]
	;; [unrolled: 3-line block ×4, first 2 shown]
	ds_read_b128 v[20:23], v80 offset:18000
	s_clause 0x7
	buffer_load_dword v98, off, s[20:23], 0 offset:288
	buffer_load_dword v99, off, s[20:23], 0 offset:292
	;; [unrolled: 1-line block ×8, first 2 shown]
	s_waitcnt lgkmcnt(7)
	v_mul_f64 v[64:65], v[138:139], v[30:31]
	v_mul_f64 v[66:67], v[138:139], v[28:29]
	s_waitcnt lgkmcnt(6)
	v_mul_f64 v[68:69], v[174:175], v[2:3]
	v_mul_f64 v[70:71], v[174:175], v[0:1]
	v_fma_f64 v[24:25], v[132:133], v[24:25], v[60:61]
	v_fma_f64 v[26:27], v[132:133], v[26:27], -v[62:63]
	s_waitcnt lgkmcnt(3)
	v_mul_f64 v[89:90], v[74:75], v[10:11]
	s_waitcnt lgkmcnt(2)
	v_mul_f64 v[62:63], v[78:79], v[14:15]
	v_mul_f64 v[78:79], v[78:79], v[12:13]
	s_waitcnt lgkmcnt(0)
	v_mul_f64 v[96:97], v[94:95], v[20:21]
	v_mul_f64 v[94:95], v[94:95], v[22:23]
	v_fma_f64 v[28:29], v[136:137], v[28:29], v[64:65]
	v_fma_f64 v[30:31], v[136:137], v[30:31], -v[66:67]
	v_mul_f64 v[64:65], v[74:75], v[8:9]
	v_fma_f64 v[68:69], v[172:173], v[0:1], v[68:69]
	v_fma_f64 v[70:71], v[172:173], v[2:3], -v[70:71]
	v_add_f64 v[24:25], v[36:37], -v[24:25]
	v_add_f64 v[26:27], v[38:39], -v[26:27]
	v_fma_f64 v[8:9], v[72:73], v[8:9], v[89:90]
	v_fma_f64 v[12:13], v[76:77], v[12:13], v[62:63]
	v_fma_f64 v[14:15], v[76:77], v[14:15], -v[78:79]
	v_fma_f64 v[22:23], v[92:93], v[22:23], -v[96:97]
	v_fma_f64 v[20:21], v[92:93], v[20:21], v[94:95]
	v_add_f64 v[28:29], v[40:41], -v[28:29]
	v_add_f64 v[30:31], v[42:43], -v[30:31]
	v_fma_f64 v[10:11], v[72:73], v[10:11], -v[64:65]
	v_add_f64 v[62:63], v[50:51], -v[70:71]
	v_fma_f64 v[36:37], v[36:37], 2.0, -v[24:25]
	v_fma_f64 v[38:39], v[38:39], 2.0, -v[26:27]
	v_add_f64 v[12:13], v[44:45], -v[12:13]
	v_add_f64 v[14:15], v[46:47], -v[14:15]
	v_fma_f64 v[40:41], v[40:41], 2.0, -v[28:29]
	v_fma_f64 v[42:43], v[42:43], 2.0, -v[30:31]
	;; [unrolled: 1-line block ×3, first 2 shown]
	v_add_f64 v[62:63], v[24:25], v[62:63]
	v_fma_f64 v[44:45], v[44:45], 2.0, -v[12:13]
	v_fma_f64 v[46:47], v[46:47], 2.0, -v[14:15]
	;; [unrolled: 1-line block ×3, first 2 shown]
	s_waitcnt vmcnt(4)
	v_mul_f64 v[83:84], v[100:101], v[6:7]
	v_mul_f64 v[85:86], v[100:101], v[4:5]
	s_clause 0x3
	buffer_load_dword v100, off, s[20:23], 0 offset:304
	buffer_load_dword v101, off, s[20:23], 0 offset:308
	;; [unrolled: 1-line block ×4, first 2 shown]
	s_waitcnt vmcnt(4)
	v_mul_f64 v[87:88], v[110:111], v[34:35]
	v_mul_f64 v[60:61], v[110:111], v[32:33]
	ds_read_b128 v[0:3], v80
	s_waitcnt vmcnt(0) lgkmcnt(0)
	s_barrier
	buffer_gl0_inv
	v_fma_f64 v[4:5], v[98:99], v[4:5], v[83:84]
	v_fma_f64 v[6:7], v[98:99], v[6:7], -v[85:86]
	v_fma_f64 v[32:33], v[108:109], v[32:33], v[87:88]
	v_fma_f64 v[34:35], v[108:109], v[34:35], -v[60:61]
	v_add_f64 v[56:57], v[0:1], -v[56:57]
	v_add_f64 v[58:59], v[2:3], -v[58:59]
	;; [unrolled: 1-line block ×7, first 2 shown]
	v_fma_f64 v[0:1], v[0:1], 2.0, -v[56:57]
	v_fma_f64 v[2:3], v[2:3], 2.0, -v[58:59]
	;; [unrolled: 1-line block ×3, first 2 shown]
	v_add_f64 v[30:31], v[56:57], v[30:31]
	v_add_f64 v[28:29], v[58:59], -v[28:29]
	v_add_f64 v[60:61], v[26:27], -v[60:61]
	v_fma_f64 v[4:5], v[4:5], 2.0, -v[8:9]
	v_fma_f64 v[6:7], v[6:7], 2.0, -v[10:11]
	v_add_f64 v[14:15], v[32:33], v[14:15]
	v_add_f64 v[12:13], v[34:35], -v[12:13]
	v_fma_f64 v[52:53], v[52:53], 2.0, -v[32:33]
	v_fma_f64 v[54:55], v[54:55], 2.0, -v[34:35]
	;; [unrolled: 1-line block ×5, first 2 shown]
	v_add_f64 v[44:45], v[52:53], -v[44:45]
	v_add_f64 v[46:47], v[54:55], -v[46:47]
	v_fma_f64 v[52:53], v[52:53], 2.0, -v[44:45]
	v_fma_f64 v[54:55], v[54:55], 2.0, -v[46:47]
	v_mul_f64 v[66:67], v[102:103], v[18:19]
	v_mul_f64 v[74:75], v[102:103], v[16:17]
	v_fma_f64 v[16:17], v[100:101], v[16:17], v[66:67]
	v_fma_f64 v[18:19], v[100:101], v[18:19], -v[74:75]
	v_add_f64 v[20:21], v[16:17], -v[20:21]
	v_add_f64 v[22:23], v[18:19], -v[22:23]
	;; [unrolled: 1-line block ×3, first 2 shown]
	v_add_f64 v[64:65], v[8:9], v[22:23]
	v_fma_f64 v[16:17], v[16:17], 2.0, -v[20:21]
	v_fma_f64 v[18:19], v[18:19], 2.0, -v[22:23]
	v_add_f64 v[20:21], v[0:1], -v[40:41]
	v_add_f64 v[22:23], v[2:3], -v[42:43]
	;; [unrolled: 1-line block ×4, first 2 shown]
	v_fma_f64 v[48:49], v[56:57], 2.0, -v[30:31]
	v_fma_f64 v[50:51], v[58:59], 2.0, -v[28:29]
	v_fma_f64 v[56:57], v[62:63], s[4:5], v[30:31]
	v_fma_f64 v[58:59], v[60:61], s[4:5], v[28:29]
	v_fma_f64 v[10:11], v[10:11], 2.0, -v[66:67]
	v_fma_f64 v[8:9], v[8:9], 2.0, -v[64:65]
	v_add_f64 v[16:17], v[4:5], -v[16:17]
	v_add_f64 v[18:19], v[6:7], -v[18:19]
	v_fma_f64 v[68:69], v[64:65], s[4:5], v[14:15]
	v_fma_f64 v[70:71], v[66:67], s[4:5], v[12:13]
	v_fma_f64 v[0:1], v[0:1], 2.0, -v[20:21]
	v_fma_f64 v[2:3], v[2:3], 2.0, -v[22:23]
	v_fma_f64 v[72:73], v[24:25], s[2:3], v[48:49]
	v_fma_f64 v[74:75], v[26:27], s[2:3], v[50:51]
	v_fma_f64 v[36:37], v[36:37], 2.0, -v[40:41]
	v_fma_f64 v[38:39], v[38:39], 2.0, -v[42:43]
	v_add_f64 v[42:43], v[20:21], v[42:43]
	v_add_f64 v[40:41], v[22:23], -v[40:41]
	v_fma_f64 v[56:57], v[60:61], s[4:5], v[56:57]
	v_fma_f64 v[58:59], v[62:63], s[2:3], v[58:59]
	;; [unrolled: 1-line block ×4, first 2 shown]
	v_fma_f64 v[4:5], v[4:5], 2.0, -v[16:17]
	v_fma_f64 v[6:7], v[6:7], 2.0, -v[18:19]
	v_add_f64 v[18:19], v[44:45], v[18:19]
	v_add_f64 v[16:17], v[46:47], -v[16:17]
	v_fma_f64 v[60:61], v[66:67], s[4:5], v[68:69]
	v_fma_f64 v[62:63], v[64:65], s[2:3], v[70:71]
	v_fma_f64 v[64:65], v[26:27], s[4:5], v[72:73]
	v_fma_f64 v[66:67], v[24:25], s[2:3], v[74:75]
	v_add_f64 v[36:37], v[0:1], -v[36:37]
	v_add_f64 v[38:39], v[2:3], -v[38:39]
	v_fma_f64 v[68:69], v[20:21], 2.0, -v[42:43]
	v_fma_f64 v[70:71], v[22:23], 2.0, -v[40:41]
	v_fma_f64 v[24:25], v[8:9], s[2:3], v[78:79]
	v_fma_f64 v[26:27], v[10:11], s[4:5], v[76:77]
	v_add_f64 v[8:9], v[52:53], -v[4:5]
	v_add_f64 v[4:5], v[54:55], -v[6:7]
	v_fma_f64 v[20:21], v[44:45], 2.0, -v[18:19]
	v_fma_f64 v[22:23], v[46:47], 2.0, -v[16:17]
	;; [unrolled: 1-line block ×10, first 2 shown]
	v_fma_f64 v[0:1], v[18:19], s[4:5], v[42:43]
	v_fma_f64 v[2:3], v[16:17], s[4:5], v[40:41]
	;; [unrolled: 1-line block ×4, first 2 shown]
	v_fma_f64 v[34:35], v[34:35], 2.0, -v[24:25]
	v_fma_f64 v[32:33], v[32:33], 2.0, -v[26:27]
	;; [unrolled: 1-line block ×4, first 2 shown]
	v_fma_f64 v[48:49], v[20:21], s[2:3], v[68:69]
	v_fma_f64 v[50:51], v[22:23], s[2:3], v[70:71]
	;; [unrolled: 1-line block ×6, first 2 shown]
	v_add_f64 v[4:5], v[36:37], v[4:5]
	v_add_f64 v[6:7], v[38:39], -v[8:9]
	v_fma_f64 v[8:9], v[16:17], s[4:5], v[0:1]
	v_fma_f64 v[10:11], v[18:19], s[2:3], v[2:3]
	;; [unrolled: 1-line block ×6, first 2 shown]
	v_add_f64 v[12:13], v[72:73], -v[12:13]
	v_add_f64 v[14:15], v[74:75], -v[14:15]
	v_fma_f64 v[16:17], v[22:23], s[4:5], v[48:49]
	v_fma_f64 v[18:19], v[20:21], s[2:3], v[50:51]
	;; [unrolled: 1-line block ×8, first 2 shown]
	v_fma_f64 v[32:33], v[36:37], 2.0, -v[4:5]
	v_fma_f64 v[34:35], v[38:39], 2.0, -v[6:7]
	v_fma_f64 v[36:37], v[42:43], 2.0, -v[8:9]
	v_fma_f64 v[38:39], v[40:41], 2.0, -v[10:11]
	v_fma_f64 v[40:41], v[56:57], 2.0, -v[0:1]
	v_fma_f64 v[42:43], v[58:59], 2.0, -v[2:3]
	v_fma_f64 v[44:45], v[72:73], 2.0, -v[12:13]
	v_fma_f64 v[46:47], v[74:75], 2.0, -v[14:15]
	v_fma_f64 v[48:49], v[68:69], 2.0, -v[16:17]
	v_fma_f64 v[50:51], v[70:71], 2.0, -v[18:19]
	v_fma_f64 v[52:53], v[76:77], 2.0, -v[20:21]
	v_fma_f64 v[54:55], v[78:79], 2.0, -v[22:23]
	v_fma_f64 v[56:57], v[64:65], 2.0, -v[24:25]
	v_fma_f64 v[58:59], v[66:67], 2.0, -v[26:27]
	v_add_nc_u32_e32 v66, 0x960, v80
	v_add_nc_u32_e32 v65, 0xe10, v80
	;; [unrolled: 1-line block ×3, first 2 shown]
	v_fma_f64 v[62:63], v[85:86], 2.0, -v[30:31]
	v_fma_f64 v[60:61], v[83:84], 2.0, -v[28:29]
	ds_write_b128 v81, v[4:7] offset:4800
	ds_write_b128 v81, v[8:11] offset:5600
	;; [unrolled: 1-line block ×10, first 2 shown]
	ds_write_b128 v81, v[44:47]
	ds_write_b128 v81, v[48:51] offset:800
	ds_write_b128 v81, v[52:55] offset:1200
	;; [unrolled: 1-line block ×5, first 2 shown]
	s_waitcnt lgkmcnt(0)
	s_barrier
	buffer_gl0_inv
	ds_read_b128 v[20:23], v80
	ds_read_b128 v[48:51], v80 offset:6400
	ds_read_b128 v[52:55], v80 offset:12800
	;; [unrolled: 1-line block ×14, first 2 shown]
	s_and_saveexec_b32 s1, s0
	s_cbranch_execz .LBB0_27
; %bb.26:
	ds_read_b128 v[0:3], v80 offset:6000
	ds_read_b128 v[164:167], v80 offset:12400
	;; [unrolled: 1-line block ×3, first 2 shown]
.LBB0_27:
	s_or_b32 exec_lo, exec_lo, s1
	s_waitcnt lgkmcnt(13)
	v_mul_f64 v[67:68], v[106:107], v[50:51]
	s_waitcnt lgkmcnt(12)
	v_mul_f64 v[69:70], v[118:119], v[54:55]
	v_mul_f64 v[71:72], v[106:107], v[48:49]
	v_mul_f64 v[73:74], v[118:119], v[52:53]
	s_waitcnt lgkmcnt(10)
	v_mul_f64 v[75:76], v[122:123], v[58:59]
	s_waitcnt lgkmcnt(9)
	v_mul_f64 v[77:78], v[142:143], v[62:63]
	v_mul_f64 v[83:84], v[122:123], v[56:57]
	v_mul_f64 v[85:86], v[142:143], v[60:61]
	;; [unrolled: 6-line block ×3, first 2 shown]
	s_waitcnt lgkmcnt(4)
	v_mul_f64 v[95:96], v[150:151], v[42:43]
	v_mul_f64 v[97:98], v[150:151], v[40:41]
	s_waitcnt lgkmcnt(3)
	v_mul_f64 v[99:100], v[158:159], v[46:47]
	v_mul_f64 v[101:102], v[158:159], v[44:45]
	s_waitcnt lgkmcnt(1)
	v_mul_f64 v[106:107], v[154:155], v[26:27]
	s_waitcnt lgkmcnt(0)
	v_mul_f64 v[108:109], v[162:163], v[30:31]
	s_mov_b32 s2, 0xe8584caa
	s_mov_b32 s3, 0xbfebb67a
	;; [unrolled: 1-line block ×4, first 2 shown]
	v_fma_f64 v[48:49], v[104:105], v[48:49], v[67:68]
	v_fma_f64 v[52:53], v[116:117], v[52:53], v[69:70]
	v_mul_f64 v[67:68], v[154:155], v[24:25]
	v_mul_f64 v[69:70], v[162:163], v[28:29]
	v_fma_f64 v[50:51], v[104:105], v[50:51], -v[71:72]
	v_fma_f64 v[54:55], v[116:117], v[54:55], -v[73:74]
	v_fma_f64 v[56:57], v[120:121], v[56:57], v[75:76]
	v_fma_f64 v[60:61], v[140:141], v[60:61], v[77:78]
	v_fma_f64 v[58:59], v[120:121], v[58:59], -v[83:84]
	v_fma_f64 v[62:63], v[140:141], v[62:63], -v[85:86]
	v_fma_f64 v[32:33], v[128:129], v[32:33], v[87:88]
	v_fma_f64 v[36:37], v[144:145], v[36:37], v[89:90]
	v_fma_f64 v[34:35], v[128:129], v[34:35], -v[91:92]
	v_fma_f64 v[38:39], v[144:145], v[38:39], -v[93:94]
	v_fma_f64 v[40:41], v[148:149], v[40:41], v[95:96]
	v_fma_f64 v[42:43], v[148:149], v[42:43], -v[97:98]
	v_fma_f64 v[44:45], v[156:157], v[44:45], v[99:100]
	;; [unrolled: 2-line block ×3, first 2 shown]
	v_fma_f64 v[71:72], v[160:161], v[28:29], v[108:109]
	v_add_f64 v[28:29], v[48:49], v[52:53]
	v_fma_f64 v[26:27], v[152:153], v[26:27], -v[67:68]
	v_fma_f64 v[67:68], v[160:161], v[30:31], -v[69:70]
	v_add_f64 v[30:31], v[20:21], v[48:49]
	v_add_f64 v[73:74], v[50:51], v[54:55]
	v_add_f64 v[75:76], v[50:51], -v[54:55]
	v_add_f64 v[69:70], v[56:57], v[60:61]
	v_add_f64 v[50:51], v[22:23], v[50:51]
	;; [unrolled: 1-line block ×5, first 2 shown]
	v_add_f64 v[48:49], v[48:49], -v[52:53]
	v_add_f64 v[89:90], v[34:35], v[38:39]
	v_add_f64 v[87:88], v[58:59], -v[62:63]
	v_add_f64 v[58:59], v[6:7], v[58:59]
	v_add_f64 v[93:94], v[40:41], v[44:45]
	;; [unrolled: 1-line block ×3, first 2 shown]
	v_add_f64 v[56:57], v[56:57], -v[60:61]
	v_add_f64 v[99:100], v[24:25], v[71:72]
	v_add_f64 v[91:92], v[8:9], v[32:33]
	v_add_f64 v[95:96], v[34:35], -v[38:39]
	v_add_f64 v[34:35], v[10:11], v[34:35]
	v_fma_f64 v[20:21], v[28:29], -0.5, v[20:21]
	v_add_f64 v[101:102], v[12:13], v[40:41]
	v_add_f64 v[28:29], v[26:27], v[67:68]
	v_add_f64 v[103:104], v[40:41], -v[44:45]
	v_fma_f64 v[22:23], v[73:74], -0.5, v[22:23]
	v_add_f64 v[73:74], v[32:33], -v[36:37]
	v_fma_f64 v[32:33], v[69:70], -0.5, v[4:5]
	;; [unrolled: 2-line block ×3, first 2 shown]
	v_add_f64 v[42:43], v[14:15], v[42:43]
	v_fma_f64 v[40:41], v[85:86], -0.5, v[8:9]
	v_add_f64 v[4:5], v[30:31], v[52:53]
	v_fma_f64 v[89:90], v[89:90], -0.5, v[10:11]
	v_add_f64 v[6:7], v[50:51], v[54:55]
	v_add_f64 v[105:106], v[16:17], v[24:25]
	v_fma_f64 v[50:51], v[93:94], -0.5, v[12:13]
	v_fma_f64 v[52:53], v[97:98], -0.5, v[14:15]
	v_add_f64 v[85:86], v[26:27], -v[67:68]
	v_add_f64 v[107:108], v[18:19], v[26:27]
	v_fma_f64 v[54:55], v[99:100], -0.5, v[16:17]
	v_add_f64 v[8:9], v[83:84], v[60:61]
	v_add_f64 v[83:84], v[24:25], -v[71:72]
	v_fma_f64 v[12:13], v[75:76], s[2:3], v[20:21]
	v_fma_f64 v[20:21], v[75:76], s[4:5], v[20:21]
	v_fma_f64 v[75:76], v[28:29], -0.5, v[18:19]
	v_add_f64 v[10:11], v[58:59], v[62:63]
	v_fma_f64 v[14:15], v[48:49], s[4:5], v[22:23]
	v_fma_f64 v[22:23], v[48:49], s[2:3], v[22:23]
	;; [unrolled: 1-line block ×6, first 2 shown]
	v_add_f64 v[28:29], v[91:92], v[36:37]
	v_add_f64 v[30:31], v[34:35], v[38:39]
	v_fma_f64 v[32:33], v[95:96], s[2:3], v[40:41]
	v_fma_f64 v[34:35], v[73:74], s[4:5], v[89:90]
	;; [unrolled: 1-line block ×4, first 2 shown]
	v_add_f64 v[40:41], v[101:102], v[44:45]
	v_add_f64 v[42:43], v[42:43], v[46:47]
	v_fma_f64 v[44:45], v[69:70], s[2:3], v[50:51]
	v_fma_f64 v[46:47], v[103:104], s[4:5], v[52:53]
	;; [unrolled: 1-line block ×4, first 2 shown]
	v_add_f64 v[52:53], v[105:106], v[71:72]
	v_fma_f64 v[56:57], v[85:86], s[2:3], v[54:55]
	v_fma_f64 v[60:61], v[85:86], s[4:5], v[54:55]
	v_add_f64 v[54:55], v[107:108], v[67:68]
	v_fma_f64 v[58:59], v[83:84], s[4:5], v[75:76]
	v_fma_f64 v[62:63], v[83:84], s[2:3], v[75:76]
	ds_write_b128 v80, v[4:7]
	ds_write_b128 v82, v[12:15] offset:6400
	ds_write_b128 v82, v[20:23] offset:12800
	;; [unrolled: 1-line block ×14, first 2 shown]
	s_and_saveexec_b32 s1, s0
	s_cbranch_execz .LBB0_29
; %bb.28:
	s_clause 0x7
	buffer_load_dword v12, off, s[20:23], 0 offset:376
	buffer_load_dword v13, off, s[20:23], 0 offset:380
	buffer_load_dword v14, off, s[20:23], 0 offset:384
	buffer_load_dword v15, off, s[20:23], 0 offset:388
	buffer_load_dword v16, off, s[20:23], 0 offset:392
	buffer_load_dword v17, off, s[20:23], 0 offset:396
	buffer_load_dword v18, off, s[20:23], 0 offset:400
	buffer_load_dword v19, off, s[20:23], 0 offset:404
	s_waitcnt vmcnt(4)
	v_mul_f64 v[4:5], v[14:15], v[164:165]
	s_waitcnt vmcnt(0)
	v_mul_f64 v[6:7], v[18:19], v[168:169]
	v_mul_f64 v[8:9], v[14:15], v[166:167]
	;; [unrolled: 1-line block ×3, first 2 shown]
	v_fma_f64 v[4:5], v[12:13], v[166:167], -v[4:5]
	v_fma_f64 v[6:7], v[16:17], v[170:171], -v[6:7]
	v_fma_f64 v[8:9], v[12:13], v[164:165], v[8:9]
	v_fma_f64 v[10:11], v[16:17], v[168:169], v[10:11]
	v_add_f64 v[18:19], v[2:3], v[4:5]
	v_add_f64 v[12:13], v[4:5], v[6:7]
	v_add_f64 v[4:5], v[4:5], -v[6:7]
	v_add_f64 v[14:15], v[8:9], v[10:11]
	v_add_f64 v[16:17], v[8:9], -v[10:11]
	v_add_f64 v[8:9], v[0:1], v[8:9]
	v_fma_f64 v[12:13], v[12:13], -0.5, v[2:3]
	v_add_f64 v[2:3], v[18:19], v[6:7]
	v_fma_f64 v[14:15], v[14:15], -0.5, v[0:1]
	v_add_f64 v[0:1], v[8:9], v[10:11]
	v_fma_f64 v[10:11], v[16:17], s[4:5], v[12:13]
	v_fma_f64 v[6:7], v[16:17], s[2:3], v[12:13]
	;; [unrolled: 1-line block ×4, first 2 shown]
	ds_write_b128 v80, v[0:3] offset:6000
	ds_write_b128 v80, v[8:11] offset:12400
	;; [unrolled: 1-line block ×3, first 2 shown]
.LBB0_29:
	s_or_b32 exec_lo, exec_lo, s1
	s_waitcnt lgkmcnt(0)
	s_barrier
	buffer_gl0_inv
	ds_read_b128 v[0:3], v80
	ds_read_b128 v[4:7], v80 offset:3840
	ds_read_b128 v[8:11], v80 offset:7680
	s_clause 0x1
	buffer_load_dword v12, off, s[20:23], 0 offset:32
	buffer_load_dword v13, off, s[20:23], 0 offset:36
	s_mul_i32 s0, s9, 0xf0
	s_mul_hi_u32 s1, s8, 0xf0
	s_mov_b32 s2, 0xb4e81b4f
	s_add_i32 s1, s1, s0
	s_mov_b32 s3, 0x3f4b4e81
	s_waitcnt vmcnt(1)
	v_mov_b32_e32 v42, v12
	s_waitcnt vmcnt(0)
	ds_read_b128 v[12:15], v80 offset:11520
	ds_read_b128 v[16:19], v80 offset:15360
	buffer_load_dword v43, off, s[20:23], 0 ; 4-byte Folded Reload
	ds_read_b128 v[20:23], v80 offset:1200
	ds_read_b128 v[24:27], v80 offset:2400
	s_clause 0x7
	buffer_load_dword v71, off, s[20:23], 0 offset:48
	buffer_load_dword v72, off, s[20:23], 0 offset:52
	;; [unrolled: 1-line block ×8, first 2 shown]
	ds_read_b128 v[28:31], v80 offset:8880
	s_clause 0x3
	buffer_load_dword v87, off, s[20:23], 0 offset:176
	buffer_load_dword v88, off, s[20:23], 0 offset:180
	;; [unrolled: 1-line block ×4, first 2 shown]
	ds_read_b128 v[32:35], v80 offset:16560
	ds_read_b128 v[36:39], v80 offset:10080
	s_clause 0x3
	buffer_load_dword v83, off, s[20:23], 0 offset:144
	buffer_load_dword v84, off, s[20:23], 0 offset:148
	buffer_load_dword v85, off, s[20:23], 0 offset:152
	buffer_load_dword v86, off, s[20:23], 0 offset:156
	v_mad_u64_u32 v[44:45], null, s10, v42, 0
	v_mov_b32_e32 v40, v45
	s_waitcnt vmcnt(16)
	v_mad_u64_u32 v[46:47], null, s8, v43, 0
	s_waitcnt vmcnt(12) lgkmcnt(9)
	v_mul_f64 v[48:49], v[73:74], v[2:3]
	v_mul_f64 v[50:51], v[73:74], v[0:1]
	s_clause 0x3
	buffer_load_dword v73, off, s[20:23], 0 offset:128
	buffer_load_dword v74, off, s[20:23], 0 offset:132
	;; [unrolled: 1-line block ×4, first 2 shown]
	s_waitcnt vmcnt(12) lgkmcnt(8)
	v_mul_f64 v[52:53], v[93:94], v[6:7]
	v_mul_f64 v[54:55], v[93:94], v[4:5]
	s_waitcnt vmcnt(4) lgkmcnt(6)
	v_mul_f64 v[63:64], v[85:86], v[12:13]
	v_mov_b32_e32 v41, v47
	v_mul_f64 v[56:57], v[89:90], v[10:11]
	v_mul_f64 v[58:59], v[89:90], v[8:9]
	v_mad_u64_u32 v[60:61], null, s11, v42, v[40:41]
	v_mad_u64_u32 v[69:70], null, s9, v43, v[41:42]
	ds_read_b128 v[40:43], v80 offset:5040
	v_mul_f64 v[61:62], v[85:86], v[14:15]
	v_mov_b32_e32 v45, v60
	v_mov_b32_e32 v47, v69
	v_fma_f64 v[0:1], v[71:72], v[0:1], v[48:49]
	v_fma_f64 v[2:3], v[71:72], v[2:3], -v[50:51]
	v_lshlrev_b64 v[44:45], 4, v[44:45]
	v_fma_f64 v[4:5], v[91:92], v[4:5], v[52:53]
	v_fma_f64 v[6:7], v[91:92], v[6:7], -v[54:55]
	v_fma_f64 v[48:49], v[83:84], v[14:15], -v[63:64]
	v_lshlrev_b64 v[46:47], 4, v[46:47]
	v_fma_f64 v[8:9], v[87:88], v[8:9], v[56:57]
	v_add_co_u32 v54, s0, s6, v44
	v_fma_f64 v[10:11], v[87:88], v[10:11], -v[58:59]
	v_add_co_ci_u32_e64 v55, s0, s7, v45, s0
	v_add_co_u32 v54, s0, v54, v46
	v_fma_f64 v[44:45], v[83:84], v[12:13], v[61:62]
	v_add_co_ci_u32_e64 v55, s0, v55, v47, s0
	s_mul_i32 s0, s8, 0xf0
	s_lshl_b64 s[4:5], s[0:1], 4
	v_mul_f64 v[0:1], v[0:1], s[2:3]
	v_mul_f64 v[2:3], v[2:3], s[2:3]
	v_add_co_u32 v62, s0, v54, s4
	v_mul_f64 v[4:5], v[4:5], s[2:3]
	v_mul_f64 v[6:7], v[6:7], s[2:3]
	v_add_co_ci_u32_e64 v63, s0, s5, v55, s0
	v_mul_f64 v[8:9], v[8:9], s[2:3]
	s_mul_i32 s1, s9, 0xfffffc8b
	v_mul_f64 v[10:11], v[10:11], s[2:3]
	s_waitcnt vmcnt(0) lgkmcnt(6)
	v_mul_f64 v[65:66], v[75:76], v[18:19]
	v_mul_f64 v[67:68], v[75:76], v[16:17]
	v_fma_f64 v[50:51], v[73:74], v[16:17], v[65:66]
	v_fma_f64 v[52:53], v[73:74], v[18:19], -v[67:68]
	s_clause 0x3
	buffer_load_dword v64, off, s[20:23], 0 offset:64
	buffer_load_dword v65, off, s[20:23], 0 offset:68
	;; [unrolled: 1-line block ×4, first 2 shown]
	ds_read_b128 v[12:15], v80 offset:6240
	v_mul_f64 v[16:17], v[44:45], s[2:3]
	v_mul_f64 v[18:19], v[48:49], s[2:3]
	;; [unrolled: 1-line block ×4, first 2 shown]
	v_add_co_u32 v50, s0, v62, s4
	v_add_co_ci_u32_e64 v51, s0, s5, v63, s0
	s_waitcnt vmcnt(0) lgkmcnt(6)
	v_mul_f64 v[56:57], v[66:67], v[22:23]
	v_mul_f64 v[58:59], v[66:67], v[20:21]
	s_clause 0x3
	buffer_load_dword v66, off, s[20:23], 0 offset:112
	buffer_load_dword v67, off, s[20:23], 0 offset:116
	;; [unrolled: 1-line block ×4, first 2 shown]
	global_store_dwordx4 v[54:55], v[0:3], off
	global_store_dwordx4 v[62:63], v[4:7], off
	;; [unrolled: 1-line block ×3, first 2 shown]
	v_add_co_u32 v4, s0, v50, s4
	v_add_co_ci_u32_e64 v5, s0, s5, v51, s0
	ds_read_b128 v[0:3], v80 offset:12720
	s_clause 0x3
	buffer_load_dword v52, off, s[20:23], 0 offset:96
	buffer_load_dword v53, off, s[20:23], 0 offset:100
	;; [unrolled: 1-line block ×4, first 2 shown]
	v_fma_f64 v[20:21], v[64:65], v[20:21], v[56:57]
	v_fma_f64 v[6:7], v[64:65], v[22:23], -v[58:59]
	v_mul_f64 v[6:7], v[6:7], s[2:3]
	s_waitcnt vmcnt(4) lgkmcnt(2)
	v_mul_f64 v[60:61], v[68:69], v[42:43]
	v_mul_f64 v[48:49], v[68:69], v[40:41]
	s_waitcnt vmcnt(0)
	v_mul_f64 v[50:51], v[54:55], v[28:29]
	v_fma_f64 v[22:23], v[66:67], v[40:41], v[60:61]
	v_add_co_u32 v40, s0, v4, s4
	v_add_co_ci_u32_e64 v41, s0, s5, v5, s0
	global_store_dwordx4 v[4:5], v[16:19], off
	global_store_dwordx4 v[40:41], v[44:47], off
	ds_read_b128 v[8:11], v80 offset:13920
	s_clause 0x3
	buffer_load_dword v56, off, s[20:23], 0 offset:80
	buffer_load_dword v57, off, s[20:23], 0 offset:84
	;; [unrolled: 1-line block ×4, first 2 shown]
	v_mul_f64 v[4:5], v[20:21], s[2:3]
	v_fma_f64 v[42:43], v[66:67], v[42:43], -v[48:49]
	v_mul_f64 v[48:49], v[54:55], v[30:31]
	v_fma_f64 v[30:31], v[52:53], v[30:31], -v[50:51]
	s_mul_hi_u32 s0, s8, 0xfffffc8b
	s_sub_i32 s0, s0, s8
	s_add_i32 s1, s0, s1
	s_mul_i32 s0, s8, 0xfffffc8b
	s_lshl_b64 s[6:7], s[0:1], 4
	v_mul_f64 v[16:17], v[22:23], s[2:3]
	ds_read_b128 v[20:23], v80 offset:17760
	s_clause 0xb
	buffer_load_dword v76, off, s[20:23], 0 offset:192
	buffer_load_dword v77, off, s[20:23], 0 offset:196
	;; [unrolled: 1-line block ×12, first 2 shown]
	v_add_co_u32 v40, s0, v40, s6
	v_add_co_ci_u32_e64 v41, s0, s7, v41, s0
	v_add_co_u32 v50, s0, v40, s4
	v_mul_f64 v[18:19], v[42:43], s[2:3]
	v_fma_f64 v[28:29], v[52:53], v[28:29], v[48:49]
	v_add_co_ci_u32_e64 v51, s0, s5, v41, s0
	s_waitcnt vmcnt(12) lgkmcnt(2)
	v_mul_f64 v[44:45], v[58:59], v[2:3]
	v_mul_f64 v[46:47], v[58:59], v[0:1]
	s_waitcnt vmcnt(8)
	v_mul_f64 v[42:43], v[78:79], v[34:35]
	v_mul_f64 v[48:49], v[78:79], v[32:33]
	s_waitcnt vmcnt(0)
	v_mul_f64 v[58:59], v[85:86], v[12:13]
	v_mul_f64 v[52:53], v[74:75], v[26:27]
	;; [unrolled: 1-line block ×3, first 2 shown]
	v_fma_f64 v[44:45], v[56:57], v[0:1], v[44:45]
	v_fma_f64 v[46:47], v[56:57], v[2:3], -v[46:47]
	v_mul_f64 v[56:57], v[85:86], v[14:15]
	s_clause 0x3
	buffer_load_dword v85, off, s[20:23], 0 offset:240
	buffer_load_dword v86, off, s[20:23], 0 offset:244
	buffer_load_dword v87, off, s[20:23], 0 offset:248
	buffer_load_dword v88, off, s[20:23], 0 offset:252
	v_mul_f64 v[0:1], v[28:29], s[2:3]
	v_mul_f64 v[2:3], v[30:31], s[2:3]
	v_fma_f64 v[30:31], v[83:84], v[14:15], -v[58:59]
	v_fma_f64 v[24:25], v[72:73], v[24:25], v[52:53]
	v_fma_f64 v[26:27], v[72:73], v[26:27], -v[54:55]
	v_fma_f64 v[28:29], v[83:84], v[12:13], v[56:57]
	v_mul_f64 v[12:13], v[24:25], s[2:3]
	v_mul_f64 v[14:15], v[26:27], s[2:3]
	s_waitcnt vmcnt(0)
	v_mul_f64 v[60:61], v[87:88], v[38:39]
	v_mul_f64 v[62:63], v[87:88], v[36:37]
	s_clause 0x3
	buffer_load_dword v87, off, s[20:23], 0 offset:256
	buffer_load_dword v88, off, s[20:23], 0 offset:260
	buffer_load_dword v89, off, s[20:23], 0 offset:264
	buffer_load_dword v90, off, s[20:23], 0 offset:268
	s_waitcnt vmcnt(0) lgkmcnt(1)
	v_mul_f64 v[64:65], v[89:90], v[10:11]
	v_mul_f64 v[66:67], v[89:90], v[8:9]
	s_clause 0x3
	buffer_load_dword v89, off, s[20:23], 0 offset:272
	buffer_load_dword v90, off, s[20:23], 0 offset:276
	;; [unrolled: 1-line block ×4, first 2 shown]
	global_store_dwordx4 v[40:41], v[4:7], off
	global_store_dwordx4 v[50:51], v[16:19], off
	v_fma_f64 v[16:17], v[76:77], v[32:33], v[42:43]
	v_fma_f64 v[18:19], v[76:77], v[34:35], -v[48:49]
	v_fma_f64 v[34:35], v[85:86], v[36:37], v[60:61]
	v_add_co_u32 v32, s0, v50, s4
	v_fma_f64 v[36:37], v[85:86], v[38:39], -v[62:63]
	v_add_co_ci_u32_e64 v33, s0, s5, v51, s0
	v_mul_f64 v[4:5], v[44:45], s[2:3]
	v_mul_f64 v[6:7], v[46:47], s[2:3]
	v_add_co_u32 v46, s0, v32, s4
	v_add_co_ci_u32_e64 v47, s0, s5, v33, s0
	global_store_dwordx4 v[32:33], v[0:3], off
	v_add_co_u32 v48, s0, v46, s4
	v_add_co_ci_u32_e64 v49, s0, s5, v47, s0
	v_fma_f64 v[38:39], v[87:88], v[8:9], v[64:65]
	v_fma_f64 v[40:41], v[87:88], v[10:11], -v[66:67]
	v_add_co_u32 v50, s0, v48, s6
	v_add_co_ci_u32_e64 v51, s0, s7, v49, s0
	v_mul_f64 v[8:9], v[16:17], s[2:3]
	v_mul_f64 v[10:11], v[18:19], s[2:3]
	;; [unrolled: 1-line block ×4, first 2 shown]
	global_store_dwordx4 v[46:47], v[4:7], off
	v_mul_f64 v[24:25], v[38:39], s[2:3]
	v_mul_f64 v[26:27], v[40:41], s[2:3]
	global_store_dwordx4 v[48:49], v[8:11], off
	s_waitcnt vmcnt(0) lgkmcnt(0)
	v_mul_f64 v[68:69], v[91:92], v[22:23]
	v_mul_f64 v[70:71], v[91:92], v[20:21]
	v_fma_f64 v[42:43], v[89:90], v[20:21], v[68:69]
	v_fma_f64 v[44:45], v[89:90], v[22:23], -v[70:71]
	v_mul_f64 v[20:21], v[34:35], s[2:3]
	v_add_co_u32 v34, s0, v50, s4
	v_mul_f64 v[22:23], v[36:37], s[2:3]
	v_add_co_ci_u32_e64 v35, s0, s5, v51, s0
	v_add_co_u32 v2, s0, v34, s4
	v_add_co_ci_u32_e64 v3, s0, s5, v35, s0
	v_add_co_u32 v4, s0, v2, s4
	;; [unrolled: 2-line block ×3, first 2 shown]
	v_add_co_ci_u32_e64 v1, s0, s5, v5, s0
	v_mul_f64 v[28:29], v[42:43], s[2:3]
	v_mul_f64 v[30:31], v[44:45], s[2:3]
	global_store_dwordx4 v[50:51], v[12:15], off
	global_store_dwordx4 v[34:35], v[16:19], off
	;; [unrolled: 1-line block ×5, first 2 shown]
	s_and_b32 exec_lo, exec_lo, vcc_lo
	s_cbranch_execz .LBB0_31
; %bb.30:
	s_clause 0x1
	buffer_load_dword v2, off, s[20:23], 0 offset:40
	buffer_load_dword v3, off, s[20:23], 0 offset:44
	ds_read_b128 v[6:9], v82 offset:3600
	v_add_co_u32 v12, vcc_lo, v0, s6
	v_add_co_ci_u32_e32 v13, vcc_lo, s7, v1, vcc_lo
	s_waitcnt vmcnt(0)
	global_load_dwordx4 v[2:5], v[2:3], off offset:1552
	s_waitcnt vmcnt(0) lgkmcnt(0)
	v_mul_f64 v[10:11], v[8:9], v[4:5]
	v_mul_f64 v[4:5], v[6:7], v[4:5]
	v_fma_f64 v[6:7], v[6:7], v[2:3], v[10:11]
	v_fma_f64 v[4:5], v[2:3], v[8:9], -v[4:5]
	v_mul_f64 v[2:3], v[6:7], s[2:3]
	v_mul_f64 v[4:5], v[4:5], s[2:3]
	global_store_dwordx4 v[12:13], v[2:5], off
	s_clause 0x1
	buffer_load_dword v0, off, s[20:23], 0 offset:24
	buffer_load_dword v1, off, s[20:23], 0 offset:28
	s_waitcnt vmcnt(0)
	global_load_dwordx4 v[0:3], v[0:1], off offset:1296
	ds_read_b128 v[4:7], v80 offset:7440
	ds_read_b128 v[8:11], v80 offset:11280
	s_waitcnt vmcnt(0) lgkmcnt(1)
	v_mul_f64 v[14:15], v[6:7], v[2:3]
	v_mul_f64 v[2:3], v[4:5], v[2:3]
	v_fma_f64 v[4:5], v[4:5], v[0:1], v[14:15]
	v_fma_f64 v[2:3], v[0:1], v[6:7], -v[2:3]
	v_mul_f64 v[0:1], v[4:5], s[2:3]
	v_mul_f64 v[2:3], v[2:3], s[2:3]
	v_add_co_u32 v4, vcc_lo, v12, s4
	v_add_co_ci_u32_e32 v5, vcc_lo, s5, v13, vcc_lo
	v_add_co_u32 v12, vcc_lo, v4, s4
	v_add_co_ci_u32_e32 v13, vcc_lo, s5, v5, vcc_lo
	global_store_dwordx4 v[4:5], v[0:3], off
	s_clause 0x1
	buffer_load_dword v0, off, s[20:23], 0 offset:16
	buffer_load_dword v1, off, s[20:23], 0 offset:20
	s_waitcnt vmcnt(0)
	global_load_dwordx4 v[0:3], v[0:1], off offset:1040
	s_waitcnt vmcnt(0) lgkmcnt(0)
	v_mul_f64 v[6:7], v[10:11], v[2:3]
	v_mul_f64 v[2:3], v[8:9], v[2:3]
	v_fma_f64 v[6:7], v[8:9], v[0:1], v[6:7]
	v_fma_f64 v[2:3], v[0:1], v[10:11], -v[2:3]
	v_mul_f64 v[0:1], v[6:7], s[2:3]
	v_mul_f64 v[2:3], v[2:3], s[2:3]
	global_store_dwordx4 v[12:13], v[0:3], off
	s_clause 0x1
	buffer_load_dword v0, off, s[20:23], 0 offset:8
	buffer_load_dword v1, off, s[20:23], 0 offset:12
	s_waitcnt vmcnt(0)
	global_load_dwordx4 v[0:3], v[0:1], off offset:784
	ds_read_b128 v[4:7], v80 offset:15120
	ds_read_b128 v[8:11], v80 offset:18960
	s_waitcnt vmcnt(0) lgkmcnt(1)
	v_mul_f64 v[14:15], v[6:7], v[2:3]
	v_mul_f64 v[2:3], v[4:5], v[2:3]
	v_fma_f64 v[4:5], v[4:5], v[0:1], v[14:15]
	v_fma_f64 v[2:3], v[0:1], v[6:7], -v[2:3]
	v_mul_f64 v[0:1], v[4:5], s[2:3]
	v_mul_f64 v[2:3], v[2:3], s[2:3]
	v_add_co_u32 v4, vcc_lo, v12, s4
	v_add_co_ci_u32_e32 v5, vcc_lo, s5, v13, vcc_lo
	global_store_dwordx4 v[4:5], v[0:3], off
	s_clause 0x1
	buffer_load_dword v0, off, s[20:23], 0 offset:364
	buffer_load_dword v1, off, s[20:23], 0 offset:368
	v_add_co_u32 v4, vcc_lo, v4, s4
	v_add_co_ci_u32_e32 v5, vcc_lo, s5, v5, vcc_lo
	s_waitcnt vmcnt(0)
	global_load_dwordx4 v[0:3], v[0:1], off offset:528
	s_waitcnt vmcnt(0) lgkmcnt(0)
	v_mul_f64 v[6:7], v[10:11], v[2:3]
	v_mul_f64 v[2:3], v[8:9], v[2:3]
	v_fma_f64 v[6:7], v[8:9], v[0:1], v[6:7]
	v_fma_f64 v[2:3], v[0:1], v[10:11], -v[2:3]
	v_mul_f64 v[0:1], v[6:7], s[2:3]
	v_mul_f64 v[2:3], v[2:3], s[2:3]
	global_store_dwordx4 v[4:5], v[0:3], off
.LBB0_31:
	s_endpgm
	.section	.rodata,"a",@progbits
	.p2align	6, 0x0
	.amdhsa_kernel bluestein_single_fwd_len1200_dim1_dp_op_CI_CI
		.amdhsa_group_segment_fixed_size 57600
		.amdhsa_private_segment_fixed_size 412
		.amdhsa_kernarg_size 104
		.amdhsa_user_sgpr_count 6
		.amdhsa_user_sgpr_private_segment_buffer 1
		.amdhsa_user_sgpr_dispatch_ptr 0
		.amdhsa_user_sgpr_queue_ptr 0
		.amdhsa_user_sgpr_kernarg_segment_ptr 1
		.amdhsa_user_sgpr_dispatch_id 0
		.amdhsa_user_sgpr_flat_scratch_init 0
		.amdhsa_user_sgpr_private_segment_size 0
		.amdhsa_wavefront_size32 1
		.amdhsa_uses_dynamic_stack 0
		.amdhsa_system_sgpr_private_segment_wavefront_offset 1
		.amdhsa_system_sgpr_workgroup_id_x 1
		.amdhsa_system_sgpr_workgroup_id_y 0
		.amdhsa_system_sgpr_workgroup_id_z 0
		.amdhsa_system_sgpr_workgroup_info 0
		.amdhsa_system_vgpr_workitem_id 0
		.amdhsa_next_free_vgpr 256
		.amdhsa_next_free_sgpr 24
		.amdhsa_reserve_vcc 1
		.amdhsa_reserve_flat_scratch 0
		.amdhsa_float_round_mode_32 0
		.amdhsa_float_round_mode_16_64 0
		.amdhsa_float_denorm_mode_32 3
		.amdhsa_float_denorm_mode_16_64 3
		.amdhsa_dx10_clamp 1
		.amdhsa_ieee_mode 1
		.amdhsa_fp16_overflow 0
		.amdhsa_workgroup_processor_mode 1
		.amdhsa_memory_ordered 1
		.amdhsa_forward_progress 0
		.amdhsa_shared_vgpr_count 0
		.amdhsa_exception_fp_ieee_invalid_op 0
		.amdhsa_exception_fp_denorm_src 0
		.amdhsa_exception_fp_ieee_div_zero 0
		.amdhsa_exception_fp_ieee_overflow 0
		.amdhsa_exception_fp_ieee_underflow 0
		.amdhsa_exception_fp_ieee_inexact 0
		.amdhsa_exception_int_div_zero 0
	.end_amdhsa_kernel
	.text
.Lfunc_end0:
	.size	bluestein_single_fwd_len1200_dim1_dp_op_CI_CI, .Lfunc_end0-bluestein_single_fwd_len1200_dim1_dp_op_CI_CI
                                        ; -- End function
	.section	.AMDGPU.csdata,"",@progbits
; Kernel info:
; codeLenInByte = 26000
; NumSgprs: 26
; NumVgprs: 256
; ScratchSize: 412
; MemoryBound: 0
; FloatMode: 240
; IeeeMode: 1
; LDSByteSize: 57600 bytes/workgroup (compile time only)
; SGPRBlocks: 3
; VGPRBlocks: 31
; NumSGPRsForWavesPerEU: 26
; NumVGPRsForWavesPerEU: 256
; Occupancy: 4
; WaveLimiterHint : 1
; COMPUTE_PGM_RSRC2:SCRATCH_EN: 1
; COMPUTE_PGM_RSRC2:USER_SGPR: 6
; COMPUTE_PGM_RSRC2:TRAP_HANDLER: 0
; COMPUTE_PGM_RSRC2:TGID_X_EN: 1
; COMPUTE_PGM_RSRC2:TGID_Y_EN: 0
; COMPUTE_PGM_RSRC2:TGID_Z_EN: 0
; COMPUTE_PGM_RSRC2:TIDIG_COMP_CNT: 0
	.text
	.p2alignl 6, 3214868480
	.fill 48, 4, 3214868480
	.type	__hip_cuid_6fabc43a9b31cf55,@object ; @__hip_cuid_6fabc43a9b31cf55
	.section	.bss,"aw",@nobits
	.globl	__hip_cuid_6fabc43a9b31cf55
__hip_cuid_6fabc43a9b31cf55:
	.byte	0                               ; 0x0
	.size	__hip_cuid_6fabc43a9b31cf55, 1

	.ident	"AMD clang version 19.0.0git (https://github.com/RadeonOpenCompute/llvm-project roc-6.4.0 25133 c7fe45cf4b819c5991fe208aaa96edf142730f1d)"
	.section	".note.GNU-stack","",@progbits
	.addrsig
	.addrsig_sym __hip_cuid_6fabc43a9b31cf55
	.amdgpu_metadata
---
amdhsa.kernels:
  - .args:
      - .actual_access:  read_only
        .address_space:  global
        .offset:         0
        .size:           8
        .value_kind:     global_buffer
      - .actual_access:  read_only
        .address_space:  global
        .offset:         8
        .size:           8
        .value_kind:     global_buffer
      - .actual_access:  read_only
        .address_space:  global
        .offset:         16
        .size:           8
        .value_kind:     global_buffer
      - .actual_access:  read_only
        .address_space:  global
        .offset:         24
        .size:           8
        .value_kind:     global_buffer
      - .actual_access:  read_only
        .address_space:  global
        .offset:         32
        .size:           8
        .value_kind:     global_buffer
      - .offset:         40
        .size:           8
        .value_kind:     by_value
      - .address_space:  global
        .offset:         48
        .size:           8
        .value_kind:     global_buffer
      - .address_space:  global
        .offset:         56
        .size:           8
        .value_kind:     global_buffer
      - .address_space:  global
        .offset:         64
        .size:           8
        .value_kind:     global_buffer
      - .address_space:  global
        .offset:         72
        .size:           8
        .value_kind:     global_buffer
      - .offset:         80
        .size:           4
        .value_kind:     by_value
      - .address_space:  global
        .offset:         88
        .size:           8
        .value_kind:     global_buffer
      - .address_space:  global
        .offset:         96
        .size:           8
        .value_kind:     global_buffer
    .group_segment_fixed_size: 57600
    .kernarg_segment_align: 8
    .kernarg_segment_size: 104
    .language:       OpenCL C
    .language_version:
      - 2
      - 0
    .max_flat_workgroup_size: 225
    .name:           bluestein_single_fwd_len1200_dim1_dp_op_CI_CI
    .private_segment_fixed_size: 412
    .sgpr_count:     26
    .sgpr_spill_count: 0
    .symbol:         bluestein_single_fwd_len1200_dim1_dp_op_CI_CI.kd
    .uniform_work_group_size: 1
    .uses_dynamic_stack: false
    .vgpr_count:     256
    .vgpr_spill_count: 102
    .wavefront_size: 32
    .workgroup_processor_mode: 1
amdhsa.target:   amdgcn-amd-amdhsa--gfx1030
amdhsa.version:
  - 1
  - 2
...

	.end_amdgpu_metadata
